;; amdgpu-corpus repo=ROCm/rocFFT kind=compiled arch=gfx1100 opt=O3
	.text
	.amdgcn_target "amdgcn-amd-amdhsa--gfx1100"
	.amdhsa_code_object_version 6
	.protected	fft_rtc_fwd_len1014_factors_13_6_13_wgs_156_tpt_78_sp_ip_CI_unitstride_sbrr_dirReg ; -- Begin function fft_rtc_fwd_len1014_factors_13_6_13_wgs_156_tpt_78_sp_ip_CI_unitstride_sbrr_dirReg
	.globl	fft_rtc_fwd_len1014_factors_13_6_13_wgs_156_tpt_78_sp_ip_CI_unitstride_sbrr_dirReg
	.p2align	8
	.type	fft_rtc_fwd_len1014_factors_13_6_13_wgs_156_tpt_78_sp_ip_CI_unitstride_sbrr_dirReg,@function
fft_rtc_fwd_len1014_factors_13_6_13_wgs_156_tpt_78_sp_ip_CI_unitstride_sbrr_dirReg: ; @fft_rtc_fwd_len1014_factors_13_6_13_wgs_156_tpt_78_sp_ip_CI_unitstride_sbrr_dirReg
; %bb.0:
	s_clause 0x2
	s_load_b128 s[4:7], s[0:1], 0x0
	s_load_b64 s[8:9], s[0:1], 0x50
	s_load_b64 s[10:11], s[0:1], 0x18
	v_mul_u32_u24_e32 v1, 0x349, v0
	v_mov_b32_e32 v3, 0
	v_mov_b32_e32 v4, 0
	s_delay_alu instid0(VALU_DEP_3) | instskip(SKIP_1) | instid1(VALU_DEP_2)
	v_lshrrev_b32_e32 v26, 16, v1
	v_mov_b32_e32 v1, 0
	v_lshl_add_u32 v5, s15, 1, v26
	s_delay_alu instid0(VALU_DEP_2) | instskip(SKIP_2) | instid1(VALU_DEP_1)
	v_mov_b32_e32 v6, v1
	s_waitcnt lgkmcnt(0)
	v_cmp_lt_u64_e64 s2, s[6:7], 2
	s_and_b32 vcc_lo, exec_lo, s2
	s_cbranch_vccnz .LBB0_8
; %bb.1:
	s_load_b64 s[2:3], s[0:1], 0x10
	v_mov_b32_e32 v3, 0
	s_add_u32 s12, s10, 8
	v_mov_b32_e32 v4, 0
	s_addc_u32 s13, s11, 0
	s_mov_b64 s[16:17], 1
	s_waitcnt lgkmcnt(0)
	s_add_u32 s14, s2, 8
	s_addc_u32 s15, s3, 0
.LBB0_2:                                ; =>This Inner Loop Header: Depth=1
	s_load_b64 s[18:19], s[14:15], 0x0
                                        ; implicit-def: $vgpr7_vgpr8
	s_mov_b32 s2, exec_lo
	s_waitcnt lgkmcnt(0)
	v_or_b32_e32 v2, s19, v6
	s_delay_alu instid0(VALU_DEP_1)
	v_cmpx_ne_u64_e32 0, v[1:2]
	s_xor_b32 s3, exec_lo, s2
	s_cbranch_execz .LBB0_4
; %bb.3:                                ;   in Loop: Header=BB0_2 Depth=1
	v_cvt_f32_u32_e32 v2, s18
	v_cvt_f32_u32_e32 v7, s19
	s_sub_u32 s2, 0, s18
	s_subb_u32 s20, 0, s19
	s_delay_alu instid0(VALU_DEP_1) | instskip(NEXT) | instid1(VALU_DEP_1)
	v_fmac_f32_e32 v2, 0x4f800000, v7
	v_rcp_f32_e32 v2, v2
	s_waitcnt_depctr 0xfff
	v_mul_f32_e32 v2, 0x5f7ffffc, v2
	s_delay_alu instid0(VALU_DEP_1) | instskip(NEXT) | instid1(VALU_DEP_1)
	v_mul_f32_e32 v7, 0x2f800000, v2
	v_trunc_f32_e32 v7, v7
	s_delay_alu instid0(VALU_DEP_1) | instskip(SKIP_1) | instid1(VALU_DEP_2)
	v_fmac_f32_e32 v2, 0xcf800000, v7
	v_cvt_u32_f32_e32 v7, v7
	v_cvt_u32_f32_e32 v2, v2
	s_delay_alu instid0(VALU_DEP_2) | instskip(NEXT) | instid1(VALU_DEP_2)
	v_mul_lo_u32 v8, s2, v7
	v_mul_hi_u32 v9, s2, v2
	v_mul_lo_u32 v10, s20, v2
	s_delay_alu instid0(VALU_DEP_2) | instskip(SKIP_1) | instid1(VALU_DEP_2)
	v_add_nc_u32_e32 v8, v9, v8
	v_mul_lo_u32 v9, s2, v2
	v_add_nc_u32_e32 v8, v8, v10
	s_delay_alu instid0(VALU_DEP_2) | instskip(NEXT) | instid1(VALU_DEP_2)
	v_mul_hi_u32 v10, v2, v9
	v_mul_lo_u32 v11, v2, v8
	v_mul_hi_u32 v12, v2, v8
	v_mul_hi_u32 v13, v7, v9
	v_mul_lo_u32 v9, v7, v9
	v_mul_hi_u32 v14, v7, v8
	v_mul_lo_u32 v8, v7, v8
	v_add_co_u32 v10, vcc_lo, v10, v11
	v_add_co_ci_u32_e32 v11, vcc_lo, 0, v12, vcc_lo
	s_delay_alu instid0(VALU_DEP_2) | instskip(NEXT) | instid1(VALU_DEP_2)
	v_add_co_u32 v9, vcc_lo, v10, v9
	v_add_co_ci_u32_e32 v9, vcc_lo, v11, v13, vcc_lo
	v_add_co_ci_u32_e32 v10, vcc_lo, 0, v14, vcc_lo
	s_delay_alu instid0(VALU_DEP_2) | instskip(NEXT) | instid1(VALU_DEP_2)
	v_add_co_u32 v8, vcc_lo, v9, v8
	v_add_co_ci_u32_e32 v9, vcc_lo, 0, v10, vcc_lo
	s_delay_alu instid0(VALU_DEP_2) | instskip(NEXT) | instid1(VALU_DEP_2)
	v_add_co_u32 v2, vcc_lo, v2, v8
	v_add_co_ci_u32_e32 v7, vcc_lo, v7, v9, vcc_lo
	s_delay_alu instid0(VALU_DEP_2) | instskip(SKIP_1) | instid1(VALU_DEP_3)
	v_mul_hi_u32 v8, s2, v2
	v_mul_lo_u32 v10, s20, v2
	v_mul_lo_u32 v9, s2, v7
	s_delay_alu instid0(VALU_DEP_1) | instskip(SKIP_1) | instid1(VALU_DEP_2)
	v_add_nc_u32_e32 v8, v8, v9
	v_mul_lo_u32 v9, s2, v2
	v_add_nc_u32_e32 v8, v8, v10
	s_delay_alu instid0(VALU_DEP_2) | instskip(NEXT) | instid1(VALU_DEP_2)
	v_mul_hi_u32 v10, v2, v9
	v_mul_lo_u32 v11, v2, v8
	v_mul_hi_u32 v12, v2, v8
	v_mul_hi_u32 v13, v7, v9
	v_mul_lo_u32 v9, v7, v9
	v_mul_hi_u32 v14, v7, v8
	v_mul_lo_u32 v8, v7, v8
	v_add_co_u32 v10, vcc_lo, v10, v11
	v_add_co_ci_u32_e32 v11, vcc_lo, 0, v12, vcc_lo
	s_delay_alu instid0(VALU_DEP_2) | instskip(NEXT) | instid1(VALU_DEP_2)
	v_add_co_u32 v9, vcc_lo, v10, v9
	v_add_co_ci_u32_e32 v9, vcc_lo, v11, v13, vcc_lo
	v_add_co_ci_u32_e32 v10, vcc_lo, 0, v14, vcc_lo
	s_delay_alu instid0(VALU_DEP_2) | instskip(NEXT) | instid1(VALU_DEP_2)
	v_add_co_u32 v8, vcc_lo, v9, v8
	v_add_co_ci_u32_e32 v9, vcc_lo, 0, v10, vcc_lo
	s_delay_alu instid0(VALU_DEP_2) | instskip(NEXT) | instid1(VALU_DEP_2)
	v_add_co_u32 v2, vcc_lo, v2, v8
	v_add_co_ci_u32_e32 v13, vcc_lo, v7, v9, vcc_lo
	s_delay_alu instid0(VALU_DEP_2) | instskip(SKIP_1) | instid1(VALU_DEP_3)
	v_mul_hi_u32 v14, v5, v2
	v_mad_u64_u32 v[9:10], null, v6, v2, 0
	v_mad_u64_u32 v[7:8], null, v5, v13, 0
	;; [unrolled: 1-line block ×3, first 2 shown]
	s_delay_alu instid0(VALU_DEP_2) | instskip(NEXT) | instid1(VALU_DEP_3)
	v_add_co_u32 v2, vcc_lo, v14, v7
	v_add_co_ci_u32_e32 v7, vcc_lo, 0, v8, vcc_lo
	s_delay_alu instid0(VALU_DEP_2) | instskip(NEXT) | instid1(VALU_DEP_2)
	v_add_co_u32 v2, vcc_lo, v2, v9
	v_add_co_ci_u32_e32 v2, vcc_lo, v7, v10, vcc_lo
	v_add_co_ci_u32_e32 v7, vcc_lo, 0, v12, vcc_lo
	s_delay_alu instid0(VALU_DEP_2) | instskip(NEXT) | instid1(VALU_DEP_2)
	v_add_co_u32 v2, vcc_lo, v2, v11
	v_add_co_ci_u32_e32 v9, vcc_lo, 0, v7, vcc_lo
	s_delay_alu instid0(VALU_DEP_2) | instskip(SKIP_1) | instid1(VALU_DEP_3)
	v_mul_lo_u32 v10, s19, v2
	v_mad_u64_u32 v[7:8], null, s18, v2, 0
	v_mul_lo_u32 v11, s18, v9
	s_delay_alu instid0(VALU_DEP_2) | instskip(NEXT) | instid1(VALU_DEP_2)
	v_sub_co_u32 v7, vcc_lo, v5, v7
	v_add3_u32 v8, v8, v11, v10
	s_delay_alu instid0(VALU_DEP_1) | instskip(NEXT) | instid1(VALU_DEP_1)
	v_sub_nc_u32_e32 v10, v6, v8
	v_subrev_co_ci_u32_e64 v10, s2, s19, v10, vcc_lo
	v_add_co_u32 v11, s2, v2, 2
	s_delay_alu instid0(VALU_DEP_1) | instskip(SKIP_3) | instid1(VALU_DEP_3)
	v_add_co_ci_u32_e64 v12, s2, 0, v9, s2
	v_sub_co_u32 v13, s2, v7, s18
	v_sub_co_ci_u32_e32 v8, vcc_lo, v6, v8, vcc_lo
	v_subrev_co_ci_u32_e64 v10, s2, 0, v10, s2
	v_cmp_le_u32_e32 vcc_lo, s18, v13
	s_delay_alu instid0(VALU_DEP_3) | instskip(SKIP_1) | instid1(VALU_DEP_4)
	v_cmp_eq_u32_e64 s2, s19, v8
	v_cndmask_b32_e64 v13, 0, -1, vcc_lo
	v_cmp_le_u32_e32 vcc_lo, s19, v10
	v_cndmask_b32_e64 v14, 0, -1, vcc_lo
	v_cmp_le_u32_e32 vcc_lo, s18, v7
	;; [unrolled: 2-line block ×3, first 2 shown]
	v_cndmask_b32_e64 v15, 0, -1, vcc_lo
	v_cmp_eq_u32_e32 vcc_lo, s19, v10
	s_delay_alu instid0(VALU_DEP_2) | instskip(SKIP_3) | instid1(VALU_DEP_3)
	v_cndmask_b32_e64 v7, v15, v7, s2
	v_cndmask_b32_e32 v10, v14, v13, vcc_lo
	v_add_co_u32 v13, vcc_lo, v2, 1
	v_add_co_ci_u32_e32 v14, vcc_lo, 0, v9, vcc_lo
	v_cmp_ne_u32_e32 vcc_lo, 0, v10
	s_delay_alu instid0(VALU_DEP_2) | instskip(NEXT) | instid1(VALU_DEP_4)
	v_cndmask_b32_e32 v8, v14, v12, vcc_lo
	v_cndmask_b32_e32 v10, v13, v11, vcc_lo
	v_cmp_ne_u32_e32 vcc_lo, 0, v7
	s_delay_alu instid0(VALU_DEP_2)
	v_dual_cndmask_b32 v7, v2, v10 :: v_dual_cndmask_b32 v8, v9, v8
.LBB0_4:                                ;   in Loop: Header=BB0_2 Depth=1
	s_and_not1_saveexec_b32 s2, s3
	s_cbranch_execz .LBB0_6
; %bb.5:                                ;   in Loop: Header=BB0_2 Depth=1
	v_cvt_f32_u32_e32 v2, s18
	s_sub_i32 s3, 0, s18
	s_delay_alu instid0(VALU_DEP_1) | instskip(SKIP_2) | instid1(VALU_DEP_1)
	v_rcp_iflag_f32_e32 v2, v2
	s_waitcnt_depctr 0xfff
	v_mul_f32_e32 v2, 0x4f7ffffe, v2
	v_cvt_u32_f32_e32 v2, v2
	s_delay_alu instid0(VALU_DEP_1) | instskip(NEXT) | instid1(VALU_DEP_1)
	v_mul_lo_u32 v7, s3, v2
	v_mul_hi_u32 v7, v2, v7
	s_delay_alu instid0(VALU_DEP_1) | instskip(NEXT) | instid1(VALU_DEP_1)
	v_add_nc_u32_e32 v2, v2, v7
	v_mul_hi_u32 v2, v5, v2
	s_delay_alu instid0(VALU_DEP_1) | instskip(SKIP_1) | instid1(VALU_DEP_2)
	v_mul_lo_u32 v7, v2, s18
	v_add_nc_u32_e32 v8, 1, v2
	v_sub_nc_u32_e32 v7, v5, v7
	s_delay_alu instid0(VALU_DEP_1) | instskip(SKIP_1) | instid1(VALU_DEP_2)
	v_subrev_nc_u32_e32 v9, s18, v7
	v_cmp_le_u32_e32 vcc_lo, s18, v7
	v_dual_cndmask_b32 v7, v7, v9 :: v_dual_cndmask_b32 v2, v2, v8
	s_delay_alu instid0(VALU_DEP_1) | instskip(NEXT) | instid1(VALU_DEP_2)
	v_cmp_le_u32_e32 vcc_lo, s18, v7
	v_add_nc_u32_e32 v8, 1, v2
	s_delay_alu instid0(VALU_DEP_1)
	v_dual_cndmask_b32 v7, v2, v8 :: v_dual_mov_b32 v8, v1
.LBB0_6:                                ;   in Loop: Header=BB0_2 Depth=1
	s_or_b32 exec_lo, exec_lo, s2
	s_load_b64 s[2:3], s[12:13], 0x0
	s_delay_alu instid0(VALU_DEP_1) | instskip(NEXT) | instid1(VALU_DEP_2)
	v_mul_lo_u32 v2, v8, s18
	v_mul_lo_u32 v11, v7, s19
	v_mad_u64_u32 v[9:10], null, v7, s18, 0
	s_add_u32 s16, s16, 1
	s_addc_u32 s17, s17, 0
	s_add_u32 s12, s12, 8
	s_addc_u32 s13, s13, 0
	;; [unrolled: 2-line block ×3, first 2 shown]
	s_delay_alu instid0(VALU_DEP_1) | instskip(SKIP_1) | instid1(VALU_DEP_2)
	v_add3_u32 v2, v10, v11, v2
	v_sub_co_u32 v9, vcc_lo, v5, v9
	v_sub_co_ci_u32_e32 v2, vcc_lo, v6, v2, vcc_lo
	s_waitcnt lgkmcnt(0)
	s_delay_alu instid0(VALU_DEP_2) | instskip(NEXT) | instid1(VALU_DEP_2)
	v_mul_lo_u32 v10, s3, v9
	v_mul_lo_u32 v2, s2, v2
	v_mad_u64_u32 v[5:6], null, s2, v9, v[3:4]
	v_cmp_ge_u64_e64 s2, s[16:17], s[6:7]
	s_delay_alu instid0(VALU_DEP_1) | instskip(NEXT) | instid1(VALU_DEP_2)
	s_and_b32 vcc_lo, exec_lo, s2
	v_add3_u32 v4, v10, v6, v2
	s_delay_alu instid0(VALU_DEP_3)
	v_mov_b32_e32 v3, v5
	s_cbranch_vccnz .LBB0_9
; %bb.7:                                ;   in Loop: Header=BB0_2 Depth=1
	v_dual_mov_b32 v5, v7 :: v_dual_mov_b32 v6, v8
	s_branch .LBB0_2
.LBB0_8:
	v_dual_mov_b32 v8, v6 :: v_dual_mov_b32 v7, v5
.LBB0_9:
	s_lshl_b64 s[2:3], s[6:7], 3
	v_mul_hi_u32 v5, 0x3483484, v0
	s_add_u32 s2, s10, s2
	s_addc_u32 s3, s11, s3
	v_mov_b32_e32 v34, 0
	s_load_b64 s[2:3], s[2:3], 0x0
	s_load_b64 s[0:1], s[0:1], 0x20
	v_mov_b32_e32 v35, 0
	s_delay_alu instid0(VALU_DEP_2) | instskip(NEXT) | instid1(VALU_DEP_2)
	v_mov_b32_e32 v18, v34
                                        ; implicit-def: $vgpr25
                                        ; implicit-def: $vgpr21
                                        ; implicit-def: $vgpr15
                                        ; implicit-def: $vgpr11
                                        ; implicit-def: $vgpr23
                                        ; implicit-def: $vgpr17
                                        ; implicit-def: $vgpr13
	v_mov_b32_e32 v19, v35
	s_waitcnt lgkmcnt(0)
	v_mul_lo_u32 v6, s2, v8
	v_mul_lo_u32 v9, s3, v7
	v_mad_u64_u32 v[1:2], null, s2, v7, v[3:4]
	v_mul_u32_u24_e32 v3, 0x4e, v5
	v_cmp_gt_u64_e32 vcc_lo, s[0:1], v[7:8]
                                        ; implicit-def: $vgpr7
                                        ; implicit-def: $vgpr5
	s_delay_alu instid0(VALU_DEP_2) | instskip(NEXT) | instid1(VALU_DEP_4)
	v_sub_nc_u32_e32 v36, v0, v3
	v_add3_u32 v2, v9, v2, v6
                                        ; implicit-def: $vgpr9
                                        ; implicit-def: $vgpr3
	s_delay_alu instid0(VALU_DEP_1)
	v_lshlrev_b64 v[32:33], 3, v[1:2]
                                        ; implicit-def: $vgpr1
	s_and_saveexec_b32 s1, vcc_lo
; %bb.10:
	v_mov_b32_e32 v37, 0
	s_delay_alu instid0(VALU_DEP_2) | instskip(NEXT) | instid1(VALU_DEP_1)
	v_add_co_u32 v2, s0, s8, v32
	v_add_co_ci_u32_e64 v3, s0, s9, v33, s0
	s_delay_alu instid0(VALU_DEP_3) | instskip(SKIP_1) | instid1(VALU_DEP_2)
	v_lshlrev_b64 v[0:1], 3, v[36:37]
	v_dual_mov_b32 v34, v36 :: v_dual_mov_b32 v35, v37
	v_add_co_u32 v0, s0, v2, v0
	s_delay_alu instid0(VALU_DEP_1) | instskip(NEXT) | instid1(VALU_DEP_2)
	v_add_co_ci_u32_e64 v1, s0, v3, v1, s0
	v_add_co_u32 v4, s0, 0x1000, v0
	s_delay_alu instid0(VALU_DEP_1)
	v_add_co_ci_u32_e64 v5, s0, 0, v1, s0
	s_clause 0xc
	global_load_b64 v[18:19], v[0:1], off
	global_load_b64 v[24:25], v[0:1], off offset:624
	global_load_b64 v[20:21], v[0:1], off offset:1248
	;; [unrolled: 1-line block ×12, first 2 shown]
; %bb.11:
	s_or_b32 exec_lo, exec_lo, s1
	s_waitcnt vmcnt(11)
	v_dual_add_f32 v27, v24, v18 :: v_dual_add_f32 v28, v25, v19
	s_waitcnt vmcnt(0)
	v_dual_add_f32 v29, v24, v4 :: v_dual_and_b32 v26, 1, v26
	v_sub_f32_e32 v24, v24, v4
	s_delay_alu instid0(VALU_DEP_3) | instskip(SKIP_1) | instid1(VALU_DEP_4)
	v_dual_add_f32 v27, v20, v27 :: v_dual_add_f32 v28, v21, v28
	v_add_f32_e32 v30, v25, v5
	v_cmp_eq_u32_e64 s0, 1, v26
	v_sub_f32_e32 v25, v25, v5
	s_delay_alu instid0(VALU_DEP_4) | instskip(SKIP_1) | instid1(VALU_DEP_4)
	v_dual_add_f32 v27, v14, v27 :: v_dual_add_f32 v28, v15, v28
	v_mul_f32_e32 v51, 0xbf29c268, v24
	v_cndmask_b32_e64 v41, 0, 0x3f6, s0
	v_cmp_gt_u32_e64 s0, 13, v36
	s_delay_alu instid0(VALU_DEP_4) | instskip(SKIP_2) | instid1(VALU_DEP_3)
	v_dual_add_f32 v27, v10, v27 :: v_dual_mul_f32 v26, 0x3f62ad3f, v29
	v_dual_add_f32 v28, v11, v28 :: v_dual_mul_f32 v37, 0x3f116cb1, v29
	v_mul_f32_e32 v39, 0x3df6dbef, v29
	v_dual_add_f32 v27, v6, v27 :: v_dual_mul_f32 v38, 0xbf52af12, v24
	s_delay_alu instid0(VALU_DEP_3) | instskip(SKIP_2) | instid1(VALU_DEP_4)
	v_add_f32_e32 v28, v7, v28
	v_mul_f32_e32 v31, 0xbeedf032, v24
	v_fmamk_f32 v45, v25, 0x3f52af12, v37
	v_dual_add_f32 v27, v0, v27 :: v_dual_mul_f32 v40, 0xbf7e222b, v24
	s_delay_alu instid0(VALU_DEP_4) | instskip(SKIP_1) | instid1(VALU_DEP_3)
	v_dual_add_f32 v28, v1, v28 :: v_dual_fmac_f32 v37, 0xbf52af12, v25
	v_fmamk_f32 v43, v25, 0x3eedf032, v26
	v_dual_add_f32 v27, v2, v27 :: v_dual_mul_f32 v42, 0xbeb58ec6, v29
	s_delay_alu instid0(VALU_DEP_3) | instskip(SKIP_2) | instid1(VALU_DEP_4)
	v_add_f32_e32 v28, v3, v28
	v_fmac_f32_e32 v26, 0xbeedf032, v25
	v_fmamk_f32 v47, v25, 0x3f7e222b, v39
	v_dual_add_f32 v27, v8, v27 :: v_dual_fmamk_f32 v44, v30, 0x3f62ad3f, v31
	v_fma_f32 v31, 0x3f62ad3f, v30, -v31
	v_dual_fmamk_f32 v46, v30, 0x3f116cb1, v38 :: v_dual_add_f32 v43, v43, v18
	s_delay_alu instid0(VALU_DEP_3) | instskip(SKIP_2) | instid1(VALU_DEP_3)
	v_dual_add_f32 v27, v12, v27 :: v_dual_add_f32 v28, v9, v28
	v_fma_f32 v38, 0x3f116cb1, v30, -v38
	v_add_f32_e32 v44, v44, v19
	v_dual_add_f32 v26, v26, v18 :: v_dual_add_f32 v27, v16, v27
	s_delay_alu instid0(VALU_DEP_4) | instskip(SKIP_1) | instid1(VALU_DEP_2)
	v_dual_add_f32 v28, v13, v28 :: v_dual_add_f32 v31, v31, v19
	v_dual_add_f32 v45, v45, v18 :: v_dual_add_f32 v46, v46, v19
	;; [unrolled: 1-line block ×4, first 2 shown]
	v_add_f32_e32 v37, v37, v18
	s_delay_alu instid0(VALU_DEP_3) | instskip(NEXT) | instid1(VALU_DEP_4)
	v_dual_sub_f32 v57, v21, v23 :: v_dual_add_f32 v28, v23, v28
	v_add_f32_e32 v4, v4, v27
	v_add_f32_e32 v55, v20, v22
	;; [unrolled: 1-line block ×3, first 2 shown]
	s_delay_alu instid0(VALU_DEP_4) | instskip(SKIP_1) | instid1(VALU_DEP_1)
	v_add_f32_e32 v5, v5, v28
	v_fma_f32 v28, 0x3df6dbef, v30, -v40
	v_dual_fmamk_f32 v27, v30, 0x3df6dbef, v40 :: v_dual_add_f32 v28, v28, v19
	s_delay_alu instid0(VALU_DEP_1) | instskip(NEXT) | instid1(VALU_DEP_1)
	v_dual_fmamk_f32 v40, v25, 0x3f6f5d39, v42 :: v_dual_add_f32 v27, v27, v19
	v_dual_fmac_f32 v39, 0xbf7e222b, v25 :: v_dual_add_f32 v40, v40, v18
	s_delay_alu instid0(VALU_DEP_1) | instskip(SKIP_1) | instid1(VALU_DEP_2)
	v_dual_mul_f32 v48, 0xbf6f5d39, v24 :: v_dual_add_f32 v39, v39, v18
	v_mul_f32_e32 v24, 0xbe750f2a, v24
	v_fmamk_f32 v49, v30, 0xbeb58ec6, v48
	v_fma_f32 v48, 0xbeb58ec6, v30, -v48
	s_delay_alu instid0(VALU_DEP_3) | instskip(NEXT) | instid1(VALU_DEP_2)
	v_fmamk_f32 v56, v30, 0xbf788fa5, v24
	v_add_f32_e32 v48, v48, v19
	s_delay_alu instid0(VALU_DEP_4) | instskip(NEXT) | instid1(VALU_DEP_1)
	v_dual_mul_f32 v50, 0xbf3f9e67, v29 :: v_dual_add_f32 v49, v49, v19
	v_fmamk_f32 v52, v25, 0x3f29c268, v50
	s_delay_alu instid0(VALU_DEP_1) | instskip(NEXT) | instid1(VALU_DEP_1)
	v_dual_fmamk_f32 v53, v30, 0xbf3f9e67, v51 :: v_dual_add_f32 v52, v52, v18
	v_dual_fmac_f32 v42, 0xbf6f5d39, v25 :: v_dual_add_f32 v53, v53, v19
	s_delay_alu instid0(VALU_DEP_1) | instskip(SKIP_1) | instid1(VALU_DEP_1)
	v_add_f32_e32 v42, v42, v18
	v_fma_f32 v51, 0xbf3f9e67, v30, -v51
	v_dual_fmac_f32 v50, 0xbf29c268, v25 :: v_dual_add_f32 v51, v51, v19
	s_delay_alu instid0(VALU_DEP_1) | instskip(SKIP_2) | instid1(VALU_DEP_3)
	v_dual_mul_f32 v29, 0xbf788fa5, v29 :: v_dual_add_f32 v50, v50, v18
	v_sub_f32_e32 v20, v20, v22
	v_fma_f32 v22, 0xbf788fa5, v30, -v24
	v_fmamk_f32 v54, v25, 0x3e750f2a, v29
	v_fmac_f32_e32 v29, 0xbe750f2a, v25
	s_delay_alu instid0(VALU_DEP_4) | instskip(NEXT) | instid1(VALU_DEP_4)
	v_dual_add_f32 v25, v56, v19 :: v_dual_mul_f32 v24, 0xbf52af12, v20
	v_add_f32_e32 v19, v22, v19
	s_delay_alu instid0(VALU_DEP_4) | instskip(SKIP_2) | instid1(VALU_DEP_2)
	v_add_f32_e32 v54, v54, v18
	v_mul_f32_e32 v58, 0x3f116cb1, v55
	v_dual_add_f32 v18, v29, v18 :: v_dual_mul_f32 v29, 0xbeb58ec6, v55
	v_fmamk_f32 v23, v57, 0x3f52af12, v58
	s_delay_alu instid0(VALU_DEP_1) | instskip(SKIP_2) | instid1(VALU_DEP_3)
	v_dual_add_f32 v22, v23, v43 :: v_dual_fmamk_f32 v43, v57, 0x3f6f5d39, v29
	v_fmamk_f32 v23, v21, 0x3f116cb1, v24
	v_fma_f32 v24, 0x3f116cb1, v21, -v24
	v_dual_mul_f32 v30, 0xbf6f5d39, v20 :: v_dual_add_f32 v43, v43, v45
	s_delay_alu instid0(VALU_DEP_2) | instskip(NEXT) | instid1(VALU_DEP_2)
	v_dual_add_f32 v23, v23, v44 :: v_dual_add_f32 v24, v24, v31
	v_fmamk_f32 v31, v21, 0xbeb58ec6, v30
	v_fma_f32 v30, 0xbeb58ec6, v21, -v30
	v_fmac_f32_e32 v29, 0xbf6f5d39, v57
	s_delay_alu instid0(VALU_DEP_3) | instskip(NEXT) | instid1(VALU_DEP_3)
	v_dual_fmac_f32 v58, 0xbf52af12, v57 :: v_dual_add_f32 v31, v31, v46
	v_add_f32_e32 v30, v30, v38
	s_delay_alu instid0(VALU_DEP_3) | instskip(SKIP_2) | instid1(VALU_DEP_3)
	v_dual_mul_f32 v44, 0xbf788fa5, v55 :: v_dual_add_f32 v29, v29, v37
	v_mul_f32_e32 v37, 0xbf3f9e67, v55
	v_mul_f32_e32 v46, 0xbe750f2a, v20
	v_dual_add_f32 v26, v58, v26 :: v_dual_fmamk_f32 v45, v57, 0x3e750f2a, v44
	s_delay_alu instid0(VALU_DEP_1) | instskip(NEXT) | instid1(VALU_DEP_4)
	v_add_f32_e32 v38, v45, v47
	v_fmamk_f32 v47, v57, 0xbf29c268, v37
	s_delay_alu instid0(VALU_DEP_1) | instskip(NEXT) | instid1(VALU_DEP_1)
	v_dual_add_f32 v40, v47, v40 :: v_dual_fmac_f32 v37, 0x3f29c268, v57
	v_dual_fmac_f32 v44, 0xbe750f2a, v57 :: v_dual_add_f32 v37, v37, v42
	s_delay_alu instid0(VALU_DEP_1) | instskip(NEXT) | instid1(VALU_DEP_1)
	v_dual_mul_f32 v56, 0x3f29c268, v20 :: v_dual_add_f32 v39, v44, v39
	v_fma_f32 v47, 0xbf3f9e67, v21, -v56
	s_delay_alu instid0(VALU_DEP_1) | instskip(NEXT) | instid1(VALU_DEP_1)
	v_dual_fmamk_f32 v44, v21, 0xbf3f9e67, v56 :: v_dual_add_f32 v47, v47, v48
	v_dual_fmamk_f32 v45, v21, 0xbf788fa5, v46 :: v_dual_add_f32 v44, v44, v49
	s_delay_alu instid0(VALU_DEP_1) | instskip(SKIP_1) | instid1(VALU_DEP_1)
	v_add_f32_e32 v27, v45, v27
	v_fma_f32 v46, 0xbf788fa5, v21, -v46
	v_add_f32_e32 v28, v46, v28
	v_mul_f32_e32 v46, 0x3f7e222b, v20
	s_delay_alu instid0(VALU_DEP_1) | instskip(NEXT) | instid1(VALU_DEP_1)
	v_dual_mul_f32 v45, 0x3df6dbef, v55 :: v_dual_fmamk_f32 v42, v21, 0x3df6dbef, v46
	v_fmamk_f32 v49, v57, 0xbf7e222b, v45
	v_fmac_f32_e32 v45, 0x3f7e222b, v57
	v_mul_f32_e32 v20, 0x3eedf032, v20
	v_fma_f32 v46, 0x3df6dbef, v21, -v46
	v_add_f32_e32 v42, v42, v53
	v_sub_f32_e32 v53, v15, v17
	v_dual_add_f32 v45, v45, v50 :: v_dual_add_f32 v50, v14, v16
	v_dual_mul_f32 v48, 0x3f62ad3f, v55 :: v_dual_add_f32 v49, v49, v52
	s_delay_alu instid0(VALU_DEP_1) | instskip(NEXT) | instid1(VALU_DEP_1)
	v_dual_add_f32 v15, v15, v17 :: v_dual_fmamk_f32 v52, v57, 0xbeedf032, v48
	v_dual_add_f32 v46, v46, v51 :: v_dual_add_f32 v51, v52, v54
	v_fmamk_f32 v52, v21, 0x3f62ad3f, v20
	v_mul_f32_e32 v54, 0x3df6dbef, v50
	v_sub_f32_e32 v14, v14, v16
	v_fma_f32 v16, 0x3f62ad3f, v21, -v20
	s_delay_alu instid0(VALU_DEP_4) | instskip(NEXT) | instid1(VALU_DEP_4)
	v_add_f32_e32 v21, v52, v25
	v_fmamk_f32 v17, v53, 0x3f7e222b, v54
	v_fmac_f32_e32 v48, 0x3eedf032, v57
	v_mul_f32_e32 v20, 0xbf7e222b, v14
	v_dual_add_f32 v16, v16, v19 :: v_dual_mul_f32 v25, 0xbe750f2a, v14
	s_delay_alu instid0(VALU_DEP_4) | instskip(NEXT) | instid1(VALU_DEP_3)
	v_add_f32_e32 v17, v17, v22
	v_dual_add_f32 v18, v48, v18 :: v_dual_fmamk_f32 v19, v15, 0x3df6dbef, v20
	v_mul_f32_e32 v22, 0xbf788fa5, v50
	s_delay_alu instid0(VALU_DEP_2) | instskip(SKIP_1) | instid1(VALU_DEP_1)
	v_dual_mul_f32 v48, 0xbeb58ec6, v50 :: v_dual_add_f32 v19, v19, v23
	v_fma_f32 v20, 0x3df6dbef, v15, -v20
	v_add_f32_e32 v20, v20, v24
	v_fmamk_f32 v24, v15, 0xbf788fa5, v25
	v_fma_f32 v25, 0xbf788fa5, v15, -v25
	v_fmac_f32_e32 v54, 0xbf7e222b, v53
	s_delay_alu instid0(VALU_DEP_2) | instskip(NEXT) | instid1(VALU_DEP_2)
	v_dual_add_f32 v24, v24, v31 :: v_dual_add_f32 v25, v25, v30
	v_dual_fmamk_f32 v23, v53, 0x3e750f2a, v22 :: v_dual_add_f32 v26, v54, v26
	v_fmamk_f32 v31, v53, 0xbf6f5d39, v48
	s_delay_alu instid0(VALU_DEP_2) | instskip(SKIP_1) | instid1(VALU_DEP_3)
	v_add_f32_e32 v23, v23, v43
	v_mul_f32_e32 v43, 0x3f6f5d39, v14
	v_add_f32_e32 v30, v31, v38
	s_delay_alu instid0(VALU_DEP_2) | instskip(SKIP_3) | instid1(VALU_DEP_3)
	v_fmamk_f32 v31, v15, 0xbeb58ec6, v43
	v_fmac_f32_e32 v22, 0xbe750f2a, v53
	v_fmac_f32_e32 v48, 0x3f6f5d39, v53
	v_fma_f32 v38, 0xbeb58ec6, v15, -v43
	v_dual_add_f32 v27, v31, v27 :: v_dual_add_f32 v22, v22, v29
	v_mul_f32_e32 v29, 0x3f62ad3f, v50
	s_delay_alu instid0(VALU_DEP_4) | instskip(NEXT) | instid1(VALU_DEP_2)
	v_dual_mul_f32 v52, 0x3eedf032, v14 :: v_dual_add_f32 v31, v48, v39
	v_fmamk_f32 v43, v53, 0xbeedf032, v29
	v_dual_fmac_f32 v29, 0x3eedf032, v53 :: v_dual_add_f32 v28, v38, v28
	s_delay_alu instid0(VALU_DEP_3) | instskip(SKIP_1) | instid1(VALU_DEP_4)
	v_fmamk_f32 v39, v15, 0x3f62ad3f, v52
	v_fma_f32 v48, 0x3f62ad3f, v15, -v52
	v_dual_add_f32 v38, v43, v40 :: v_dual_mul_f32 v43, 0xbf52af12, v14
	s_delay_alu instid0(VALU_DEP_4) | instskip(NEXT) | instid1(VALU_DEP_4)
	v_dual_mul_f32 v40, 0x3f116cb1, v50 :: v_dual_add_f32 v29, v29, v37
	v_add_f32_e32 v39, v39, v44
	s_delay_alu instid0(VALU_DEP_4) | instskip(NEXT) | instid1(VALU_DEP_3)
	v_dual_add_f32 v47, v48, v47 :: v_dual_mul_f32 v48, 0xbf3f9e67, v50
	v_fmamk_f32 v44, v53, 0x3f52af12, v40
	s_delay_alu instid0(VALU_DEP_1) | instskip(NEXT) | instid1(VALU_DEP_1)
	v_dual_fmamk_f32 v37, v15, 0x3f116cb1, v43 :: v_dual_add_f32 v44, v44, v49
	v_dual_fmac_f32 v40, 0xbf52af12, v53 :: v_dual_add_f32 v37, v37, v42
	v_fma_f32 v42, 0x3f116cb1, v15, -v43
	v_sub_f32_e32 v49, v11, v13
	s_delay_alu instid0(VALU_DEP_3) | instskip(NEXT) | instid1(VALU_DEP_3)
	v_dual_add_f32 v40, v40, v45 :: v_dual_add_f32 v45, v10, v12
	v_dual_fmamk_f32 v43, v53, 0x3f29c268, v48 :: v_dual_add_f32 v42, v42, v46
	v_mul_f32_e32 v14, 0xbf29c268, v14
	v_sub_f32_e32 v10, v10, v12
	s_delay_alu instid0(VALU_DEP_3) | instskip(SKIP_1) | instid1(VALU_DEP_4)
	v_dual_mul_f32 v50, 0xbeb58ec6, v45 :: v_dual_add_f32 v43, v43, v51
	v_add_f32_e32 v11, v11, v13
	v_fma_f32 v12, 0xbf3f9e67, v15, -v14
	s_delay_alu instid0(VALU_DEP_3) | instskip(SKIP_2) | instid1(VALU_DEP_3)
	v_fmamk_f32 v13, v49, 0x3f6f5d39, v50
	v_fmamk_f32 v46, v15, 0xbf3f9e67, v14
	v_mul_f32_e32 v14, 0xbf6f5d39, v10
	v_dual_add_f32 v12, v12, v16 :: v_dual_add_f32 v13, v13, v17
	v_mul_f32_e32 v17, 0xbf3f9e67, v45
	s_delay_alu instid0(VALU_DEP_3) | instskip(SKIP_2) | instid1(VALU_DEP_3)
	v_fmamk_f32 v16, v11, 0xbeb58ec6, v14
	v_fmac_f32_e32 v48, 0xbf29c268, v53
	v_fma_f32 v14, 0xbeb58ec6, v11, -v14
	v_dual_add_f32 v16, v16, v19 :: v_dual_fmamk_f32 v19, v49, 0xbf29c268, v17
	v_fmac_f32_e32 v17, 0x3f29c268, v49
	s_delay_alu instid0(VALU_DEP_4) | instskip(NEXT) | instid1(VALU_DEP_4)
	v_dual_add_f32 v15, v46, v21 :: v_dual_add_f32 v18, v48, v18
	v_dual_mul_f32 v21, 0x3f29c268, v10 :: v_dual_add_f32 v14, v14, v20
	s_delay_alu instid0(VALU_DEP_4) | instskip(NEXT) | instid1(VALU_DEP_4)
	v_add_f32_e32 v19, v19, v23
	v_dual_add_f32 v17, v17, v22 :: v_dual_mul_f32 v22, 0x3df6dbef, v45
	s_delay_alu instid0(VALU_DEP_3) | instskip(SKIP_2) | instid1(VALU_DEP_3)
	v_fmamk_f32 v20, v11, 0xbf3f9e67, v21
	v_fma_f32 v21, 0xbf3f9e67, v11, -v21
	v_mul_f32_e32 v48, 0xbf7e222b, v10
	v_add_f32_e32 v20, v20, v24
	v_mul_f32_e32 v24, 0x3eedf032, v10
	v_mul_f32_e32 v46, 0x3f62ad3f, v45
	v_add_f32_e32 v21, v21, v25
	s_delay_alu instid0(VALU_DEP_3) | instskip(NEXT) | instid1(VALU_DEP_3)
	v_fmamk_f32 v25, v11, 0x3f62ad3f, v24
	v_fmamk_f32 v23, v49, 0xbeedf032, v46
	v_fmac_f32_e32 v50, 0xbf6f5d39, v49
	s_delay_alu instid0(VALU_DEP_3) | instskip(NEXT) | instid1(VALU_DEP_3)
	v_dual_fmac_f32 v46, 0x3eedf032, v49 :: v_dual_add_f32 v25, v25, v27
	v_add_f32_e32 v23, v23, v30
	s_delay_alu instid0(VALU_DEP_3) | instskip(NEXT) | instid1(VALU_DEP_3)
	v_add_f32_e32 v26, v50, v26
	v_dual_fmamk_f32 v30, v49, 0x3f7e222b, v22 :: v_dual_add_f32 v27, v46, v31
	v_fma_f32 v24, 0x3f62ad3f, v11, -v24
	v_mul_f32_e32 v31, 0xbf788fa5, v45
	s_delay_alu instid0(VALU_DEP_2) | instskip(NEXT) | instid1(VALU_DEP_4)
	v_dual_mul_f32 v45, 0x3f116cb1, v45 :: v_dual_add_f32 v24, v24, v28
	v_add_f32_e32 v28, v30, v38
	v_fmamk_f32 v30, v11, 0x3df6dbef, v48
	v_mul_f32_e32 v38, 0x3e750f2a, v10
	v_mul_f32_e32 v10, 0x3f52af12, v10
	s_delay_alu instid0(VALU_DEP_3) | instskip(SKIP_1) | instid1(VALU_DEP_2)
	v_dual_add_f32 v30, v30, v39 :: v_dual_fmamk_f32 v39, v49, 0xbe750f2a, v31
	v_fmac_f32_e32 v31, 0x3e750f2a, v49
	v_dual_add_f32 v39, v39, v44 :: v_dual_fmac_f32 v22, 0xbf7e222b, v49
	s_delay_alu instid0(VALU_DEP_2) | instskip(SKIP_1) | instid1(VALU_DEP_1)
	v_add_f32_e32 v31, v31, v40
	v_add_f32_e32 v40, v6, v8
	v_mul_f32_e32 v44, 0xbf3f9e67, v40
	s_delay_alu instid0(VALU_DEP_4) | instskip(NEXT) | instid1(VALU_DEP_1)
	v_dual_add_f32 v22, v22, v29 :: v_dual_fmamk_f32 v29, v11, 0xbf788fa5, v38
	v_add_f32_e32 v29, v29, v37
	v_fma_f32 v46, 0x3df6dbef, v11, -v48
	v_fma_f32 v37, 0xbf788fa5, v11, -v38
	v_fmamk_f32 v38, v49, 0xbf52af12, v45
	s_delay_alu instid0(VALU_DEP_3) | instskip(NEXT) | instid1(VALU_DEP_2)
	v_dual_fmac_f32 v45, 0x3f52af12, v49 :: v_dual_add_f32 v46, v46, v47
	v_dual_add_f32 v37, v37, v42 :: v_dual_add_f32 v38, v38, v43
	v_dual_sub_f32 v43, v7, v9 :: v_dual_sub_f32 v6, v6, v8
	v_fmamk_f32 v42, v11, 0x3f116cb1, v10
	v_fma_f32 v8, 0x3f116cb1, v11, -v10
	v_add_f32_e32 v7, v7, v9
	s_delay_alu instid0(VALU_DEP_4) | instskip(NEXT) | instid1(VALU_DEP_4)
	v_fmamk_f32 v9, v43, 0x3f29c268, v44
	v_dual_mul_f32 v10, 0xbf29c268, v6 :: v_dual_add_f32 v11, v42, v15
	v_dual_add_f32 v15, v45, v18 :: v_dual_mul_f32 v42, 0x3f116cb1, v40
	s_delay_alu instid0(VALU_DEP_3) | instskip(NEXT) | instid1(VALU_DEP_3)
	v_dual_add_f32 v8, v8, v12 :: v_dual_add_f32 v9, v9, v13
	v_fmamk_f32 v12, v7, 0xbf3f9e67, v10
	v_mul_f32_e32 v13, 0x3df6dbef, v40
	s_delay_alu instid0(VALU_DEP_2) | instskip(NEXT) | instid1(VALU_DEP_2)
	v_add_f32_e32 v12, v12, v16
	v_fmamk_f32 v16, v43, 0xbf7e222b, v13
	v_fmac_f32_e32 v13, 0x3f7e222b, v43
	s_delay_alu instid0(VALU_DEP_2) | instskip(SKIP_1) | instid1(VALU_DEP_3)
	v_dual_add_f32 v16, v16, v19 :: v_dual_fmamk_f32 v19, v43, 0x3f52af12, v42
	v_fmac_f32_e32 v42, 0xbf52af12, v43
	v_dual_mul_f32 v18, 0x3f7e222b, v6 :: v_dual_add_f32 v13, v13, v17
	s_delay_alu instid0(VALU_DEP_3) | instskip(SKIP_1) | instid1(VALU_DEP_1)
	v_add_f32_e32 v19, v19, v23
	v_fma_f32 v10, 0xbf3f9e67, v7, -v10
	v_add_f32_e32 v10, v10, v14
	s_delay_alu instid0(VALU_DEP_4) | instskip(SKIP_1) | instid1(VALU_DEP_2)
	v_fmamk_f32 v14, v7, 0x3df6dbef, v18
	v_fma_f32 v18, 0x3df6dbef, v7, -v18
	v_add_f32_e32 v14, v14, v20
	s_delay_alu instid0(VALU_DEP_2) | instskip(SKIP_1) | instid1(VALU_DEP_2)
	v_dual_add_f32 v17, v18, v21 :: v_dual_mul_f32 v18, 0xbf788fa5, v40
	v_mul_f32_e32 v20, 0xbf52af12, v6
	v_fmamk_f32 v23, v43, 0xbe750f2a, v18
	v_fmac_f32_e32 v44, 0xbf29c268, v43
	s_delay_alu instid0(VALU_DEP_3) | instskip(SKIP_1) | instid1(VALU_DEP_3)
	v_fmamk_f32 v21, v7, 0x3f116cb1, v20
	v_fma_f32 v20, 0x3f116cb1, v7, -v20
	v_dual_add_f32 v23, v23, v28 :: v_dual_add_f32 v26, v44, v26
	s_delay_alu instid0(VALU_DEP_3)
	v_dual_mul_f32 v44, 0x3e750f2a, v6 :: v_dual_add_f32 v21, v21, v25
	v_add_f32_e32 v25, v42, v27
	v_mul_f32_e32 v27, 0x3f62ad3f, v40
	v_mul_f32_e32 v40, 0xbeb58ec6, v40
	v_add_f32_e32 v20, v20, v24
	v_fmamk_f32 v24, v7, 0xbf788fa5, v44
	v_mul_f32_e32 v28, 0x3eedf032, v6
	v_mul_f32_e32 v6, 0xbf6f5d39, v6
	s_delay_alu instid0(VALU_DEP_3) | instskip(SKIP_2) | instid1(VALU_DEP_2)
	v_add_f32_e32 v24, v24, v30
	v_fmamk_f32 v30, v43, 0xbeedf032, v27
	v_fmac_f32_e32 v27, 0x3eedf032, v43
	v_add_f32_e32 v30, v30, v39
	s_delay_alu instid0(VALU_DEP_2) | instskip(SKIP_1) | instid1(VALU_DEP_1)
	v_add_f32_e32 v27, v27, v31
	v_add_f32_e32 v31, v0, v2
	v_mul_f32_e32 v39, 0xbf788fa5, v31
	v_fmac_f32_e32 v18, 0x3e750f2a, v43
	s_delay_alu instid0(VALU_DEP_1) | instskip(SKIP_2) | instid1(VALU_DEP_2)
	v_add_f32_e32 v18, v18, v22
	v_fmamk_f32 v22, v7, 0x3f62ad3f, v28
	v_fma_f32 v28, 0x3f62ad3f, v7, -v28
	v_dual_add_f32 v22, v22, v29 :: v_dual_fmamk_f32 v29, v43, 0x3f6f5d39, v40
	v_fmac_f32_e32 v40, 0xbf6f5d39, v43
	v_add_f32_e32 v43, v1, v3
	s_delay_alu instid0(VALU_DEP_3) | instskip(SKIP_1) | instid1(VALU_DEP_1)
	v_add_f32_e32 v29, v29, v38
	v_sub_f32_e32 v38, v1, v3
	v_dual_add_f32 v40, v40, v15 :: v_dual_fmamk_f32 v1, v38, 0x3e750f2a, v39
	v_fma_f32 v42, 0xbf788fa5, v7, -v44
	v_sub_f32_e32 v44, v0, v2
	v_fma_f32 v0, 0xbeb58ec6, v7, -v6
	s_delay_alu instid0(VALU_DEP_2) | instskip(NEXT) | instid1(VALU_DEP_2)
	v_mul_f32_e32 v3, 0xbe750f2a, v44
	v_add_f32_e32 v45, v0, v8
	v_dual_mul_f32 v15, 0x3f52af12, v44 :: v_dual_add_f32 v2, v1, v9
	v_fmac_f32_e32 v39, 0xbe750f2a, v38
	s_delay_alu instid0(VALU_DEP_4) | instskip(SKIP_1) | instid1(VALU_DEP_2)
	v_fmamk_f32 v0, v43, 0xbf788fa5, v3
	v_fma_f32 v1, 0xbf788fa5, v43, -v3
	v_dual_add_f32 v3, v0, v12 :: v_dual_mul_f32 v12, 0xbf3f9e67, v31
	v_dual_add_f32 v28, v28, v37 :: v_dual_fmamk_f32 v37, v7, 0xbeb58ec6, v6
	v_dual_mul_f32 v7, 0x3eedf032, v44 :: v_dual_add_f32 v42, v42, v46
	s_delay_alu instid0(VALU_DEP_4) | instskip(NEXT) | instid1(VALU_DEP_3)
	v_add_f32_e32 v1, v1, v10
	v_dual_add_f32 v0, v39, v26 :: v_dual_add_f32 v37, v37, v11
	s_delay_alu instid0(VALU_DEP_3)
	v_fmamk_f32 v9, v43, 0x3f62ad3f, v7
	v_fma_f32 v10, 0x3f62ad3f, v43, -v7
	v_fmamk_f32 v11, v38, 0x3f29c268, v12
	v_fmac_f32_e32 v12, 0xbf29c268, v38
	v_lshl_add_u32 v26, v41, 3, 0
	v_dual_add_f32 v7, v9, v14 :: v_dual_mul_f32 v14, 0xbf29c268, v44
	s_delay_alu instid0(VALU_DEP_4) | instskip(SKIP_4) | instid1(VALU_DEP_4)
	v_dual_add_f32 v9, v10, v17 :: v_dual_add_f32 v10, v11, v19
	v_fmamk_f32 v17, v43, 0x3f116cb1, v15
	v_fma_f32 v19, 0x3f116cb1, v43, -v15
	v_mul_f32_e32 v8, 0x3f62ad3f, v31
	v_dual_fmamk_f32 v11, v43, 0xbf3f9e67, v14 :: v_dual_add_f32 v12, v12, v25
	v_add_f32_e32 v15, v17, v24
	s_delay_alu instid0(VALU_DEP_3) | instskip(SKIP_3) | instid1(VALU_DEP_3)
	v_dual_add_f32 v17, v19, v42 :: v_dual_fmamk_f32 v6, v38, 0xbeedf032, v8
	v_fmac_f32_e32 v8, 0x3eedf032, v38
	v_mul_f32_e32 v25, 0x3df6dbef, v31
	v_add_f32_e32 v11, v11, v21
	v_add_f32_e32 v8, v8, v13
	v_fma_f32 v13, 0xbf3f9e67, v43, -v14
	s_delay_alu instid0(VALU_DEP_1) | instskip(SKIP_2) | instid1(VALU_DEP_2)
	v_add_f32_e32 v13, v13, v20
	v_mul_f32_e32 v21, 0xbf6f5d39, v44
	v_mul_f32_e32 v20, 0xbeb58ec6, v31
	v_fmamk_f32 v24, v43, 0xbeb58ec6, v21
	v_fma_f32 v21, 0xbeb58ec6, v43, -v21
	s_delay_alu instid0(VALU_DEP_2) | instskip(NEXT) | instid1(VALU_DEP_2)
	v_dual_add_f32 v19, v24, v22 :: v_dual_add_f32 v6, v6, v16
	v_dual_mul_f32 v16, 0x3f116cb1, v31 :: v_dual_add_f32 v21, v21, v28
	v_mul_f32_e32 v22, 0x3f7e222b, v44
	s_delay_alu instid0(VALU_DEP_2) | instskip(SKIP_1) | instid1(VALU_DEP_3)
	v_fmamk_f32 v14, v38, 0xbf52af12, v16
	v_fmac_f32_e32 v16, 0x3f52af12, v38
	v_fmamk_f32 v24, v43, 0x3df6dbef, v22
	s_delay_alu instid0(VALU_DEP_3) | instskip(NEXT) | instid1(VALU_DEP_3)
	v_add_f32_e32 v14, v14, v23
	v_dual_fmamk_f32 v23, v38, 0x3f6f5d39, v20 :: v_dual_add_f32 v16, v16, v18
	v_fmac_f32_e32 v20, 0xbf6f5d39, v38
	s_delay_alu instid0(VALU_DEP_2) | instskip(NEXT) | instid1(VALU_DEP_2)
	v_dual_add_f32 v18, v23, v30 :: v_dual_fmamk_f32 v23, v38, 0xbf7e222b, v25
	v_add_f32_e32 v20, v20, v27
	v_fma_f32 v27, 0x3df6dbef, v43, -v22
	v_fmac_f32_e32 v25, 0x3f7e222b, v38
	v_lshl_add_u32 v43, v36, 3, v26
	v_add_f32_e32 v22, v23, v29
	v_mad_u32_u24 v29, 0x68, v36, v26
	s_delay_alu instid0(VALU_DEP_4)
	v_dual_add_f32 v23, v24, v37 :: v_dual_add_f32 v24, v25, v40
	v_add_f32_e32 v25, v27, v45
	ds_store_2addr_b64 v29, v[4:5], v[2:3] offset1:1
	ds_store_2addr_b64 v29, v[6:7], v[10:11] offset0:2 offset1:3
	ds_store_2addr_b64 v29, v[14:15], v[18:19] offset0:4 offset1:5
	;; [unrolled: 1-line block ×5, first 2 shown]
	ds_store_b64 v29, v[0:1] offset:96
	v_mad_i32_i24 v42, 0xffffffa0, v36, v29
	s_waitcnt lgkmcnt(0)
	s_barrier
	buffer_gl0_inv
                                        ; implicit-def: $vgpr7
                                        ; implicit-def: $vgpr11
	v_add_nc_u32_e32 v2, 0x400, v42
	v_add_nc_u32_e32 v3, 0x800, v42
	;; [unrolled: 1-line block ×4, first 2 shown]
	ds_load_2addr_b64 v[12:15], v42 offset0:78 offset1:169
	ds_load_2addr_b64 v[28:31], v2 offset0:119 offset1:210
	;; [unrolled: 1-line block ×5, first 2 shown]
	ds_load_b64 v[37:38], v43
	ds_load_b64 v[39:40], v42 offset:7384
	s_and_saveexec_b32 s1, s0
	s_cbranch_execz .LBB0_13
; %bb.12:
	v_add_nc_u32_e32 v4, 0xe00, v42
	v_add_nc_u32_e32 v5, 0x1800, v42
	ds_load_2addr_b64 v[0:3], v2 offset0:28 offset1:197
	ds_load_2addr_b64 v[8:11], v4 offset0:46 offset1:215
	;; [unrolled: 1-line block ×3, first 2 shown]
.LBB0_13:
	s_or_b32 exec_lo, exec_lo, s1
	v_and_b32_e32 v44, 0xff, v36
	s_delay_alu instid0(VALU_DEP_1) | instskip(NEXT) | instid1(VALU_DEP_1)
	v_mul_lo_u16 v44, 0x4f, v44
	v_lshrrev_b16 v64, 10, v44
	v_add_nc_u16 v44, v36, 0x4e
	s_delay_alu instid0(VALU_DEP_2) | instskip(NEXT) | instid1(VALU_DEP_2)
	v_mul_lo_u16 v45, v64, 13
	v_and_b32_e32 v46, 0xff, v44
	s_delay_alu instid0(VALU_DEP_2) | instskip(NEXT) | instid1(VALU_DEP_2)
	v_sub_nc_u16 v45, v36, v45
	v_mul_lo_u16 v46, 0x4f, v46
	s_delay_alu instid0(VALU_DEP_2) | instskip(NEXT) | instid1(VALU_DEP_2)
	v_and_b32_e32 v65, 0xff, v45
	v_lshrrev_b16 v66, 10, v46
	s_delay_alu instid0(VALU_DEP_2) | instskip(NEXT) | instid1(VALU_DEP_2)
	v_mul_u32_u24_e32 v45, 5, v65
	v_mul_lo_u16 v46, v66, 13
	s_delay_alu instid0(VALU_DEP_2) | instskip(NEXT) | instid1(VALU_DEP_2)
	v_lshlrev_b32_e32 v52, 3, v45
	v_sub_nc_u16 v53, v44, v46
	s_clause 0x1
	global_load_b128 v[44:47], v52, s[4:5]
	global_load_b128 v[48:51], v52, s[4:5] offset:16
	v_and_b32_e32 v67, 0xff, v53
	global_load_b64 v[60:61], v52, s[4:5] offset:32
	v_and_b32_e32 v64, 0xffff, v64
	v_and_b32_e32 v66, 0xffff, v66
	v_lshlrev_b32_e32 v41, 3, v41
	s_delay_alu instid0(VALU_DEP_2)
	v_mad_u32_u24 v66, 0x270, v66, 0
	s_waitcnt vmcnt(1) lgkmcnt(4)
	v_mul_f32_e32 v68, v49, v27
	v_mul_u32_u24_e32 v52, 5, v67
	s_waitcnt vmcnt(0) lgkmcnt(2)
	v_mul_f32_e32 v70, v61, v19
	v_mul_f32_e32 v69, v51, v23
	v_mad_u32_u24 v64, 0x270, v64, 0
	v_dual_mul_f32 v49, v49, v26 :: v_dual_lshlrev_b32 v62, 3, v52
	s_clause 0x2
	global_load_b128 v[52:55], v62, s[4:5]
	global_load_b128 v[56:59], v62, s[4:5] offset:16
	global_load_b64 v[62:63], v62, s[4:5] offset:32
	v_lshlrev_b32_e32 v65, 3, v65
	v_lshlrev_b32_e32 v67, 3, v67
	v_mul_f32_e32 v51, v51, v22
	v_mul_f32_e32 v61, v61, v18
	v_fma_f32 v22, v50, v22, -v69
	v_add3_u32 v64, v64, v65, v41
	v_add3_u32 v65, v66, v67, v41
	v_mul_f32_e32 v66, v45, v15
	v_mul_f32_e32 v67, v47, v31
	;; [unrolled: 1-line block ×4, first 2 shown]
	v_fma_f32 v18, v60, v18, -v70
	v_fma_f32 v66, v44, v14, -v66
	;; [unrolled: 1-line block ×3, first 2 shown]
	s_waitcnt vmcnt(0) lgkmcnt(0)
	v_fmac_f32_e32 v45, v44, v15
	v_fma_f32 v15, v48, v26, -v68
	s_barrier
	buffer_gl0_inv
	v_dual_mul_f32 v30, v53, v28 :: v_dual_fmac_f32 v47, v46, v31
	v_mul_f32_e32 v46, v16, v59
	v_fmac_f32_e32 v61, v60, v19
	v_dual_mul_f32 v19, v53, v29 :: v_dual_mul_f32 v26, v55, v24
	v_fmac_f32_e32 v49, v48, v27
	v_mul_f32_e32 v27, v57, v21
	v_mul_f32_e32 v44, v17, v59
	v_dual_fmac_f32 v51, v50, v23 :: v_dual_fmac_f32 v46, v17, v58
	v_mul_f32_e32 v50, v39, v63
	v_mul_f32_e32 v23, v55, v25
	v_dual_fmac_f32 v30, v52, v29 :: v_dual_mul_f32 v31, v57, v20
	v_mul_f32_e32 v48, v40, v63
	v_fma_f32 v53, v52, v28, -v19
	v_fma_f32 v20, v56, v20, -v27
	v_fmac_f32_e32 v50, v40, v62
	v_fma_f32 v19, v54, v24, -v23
	v_dual_sub_f32 v24, v47, v51 :: v_dual_fmac_f32 v31, v56, v21
	v_fma_f32 v21, v16, v58, -v44
	v_dual_add_f32 v16, v37, v14 :: v_dual_add_f32 v27, v47, v51
	v_fmac_f32_e32 v26, v54, v25
	v_fma_f32 v23, v39, v62, -v48
	v_dual_add_f32 v17, v14, v22 :: v_dual_add_f32 v40, v45, v49
	v_dual_add_f32 v25, v38, v47 :: v_dual_add_f32 v44, v49, v61
	;; [unrolled: 1-line block ×3, first 2 shown]
	v_dual_add_f32 v16, v16, v22 :: v_dual_sub_f32 v39, v49, v61
	v_dual_fmac_f32 v38, -0.5, v27 :: v_dual_add_f32 v27, v19, v21
	v_sub_f32_e32 v14, v14, v22
	s_delay_alu instid0(VALU_DEP_4)
	v_dual_sub_f32 v15, v15, v18 :: v_dual_fmac_f32 v66, -0.5, v29
	v_fma_f32 v37, -0.5, v17, v37
	v_dual_add_f32 v17, v25, v51 :: v_dual_add_f32 v18, v28, v18
	v_dual_add_f32 v22, v40, v61 :: v_dual_fmac_f32 v45, -0.5, v44
	v_dual_add_f32 v25, v12, v19 :: v_dual_sub_f32 v28, v26, v46
	v_dual_add_f32 v29, v13, v26 :: v_dual_add_f32 v44, v20, v23
	v_dual_add_f32 v26, v26, v46 :: v_dual_sub_f32 v19, v19, v21
	v_dual_add_f32 v40, v53, v20 :: v_dual_sub_f32 v47, v31, v50
	v_dual_add_f32 v48, v30, v31 :: v_dual_add_f32 v31, v31, v50
	v_sub_f32_e32 v20, v20, v23
	v_fma_f32 v12, -0.5, v27, v12
	v_fmamk_f32 v49, v24, 0x3f5db3d7, v37
	v_fmac_f32_e32 v37, 0xbf5db3d7, v24
	v_fmamk_f32 v51, v14, 0xbf5db3d7, v38
	v_fmac_f32_e32 v38, 0x3f5db3d7, v14
	v_add_f32_e32 v14, v16, v18
	v_fmamk_f32 v24, v39, 0x3f5db3d7, v66
	v_dual_fmac_f32 v66, 0xbf5db3d7, v39 :: v_dual_fmamk_f32 v39, v15, 0xbf5db3d7, v45
	v_dual_sub_f32 v16, v16, v18 :: v_dual_fmac_f32 v45, 0x3f5db3d7, v15
	v_dual_add_f32 v15, v17, v22 :: v_dual_fmac_f32 v30, -0.5, v31
	v_sub_f32_e32 v17, v17, v22
	v_add_f32_e32 v21, v25, v21
	v_dual_add_f32 v22, v29, v46 :: v_dual_add_f32 v23, v40, v23
	v_dual_fmamk_f32 v40, v28, 0x3f5db3d7, v12 :: v_dual_fmac_f32 v53, -0.5, v44
	v_dual_fmac_f32 v13, -0.5, v26 :: v_dual_fmac_f32 v12, 0xbf5db3d7, v28
	v_dual_mul_f32 v26, 0x3f5db3d7, v39 :: v_dual_mul_f32 v31, -0.5, v45
	s_delay_alu instid0(VALU_DEP_4) | instskip(NEXT) | instid1(VALU_DEP_4)
	v_dual_add_f32 v18, v21, v23 :: v_dual_mul_f32 v27, -0.5, v66
	v_fmamk_f32 v46, v47, 0x3f5db3d7, v53
	v_fmac_f32_e32 v53, 0xbf5db3d7, v47
	v_fmamk_f32 v47, v20, 0xbf5db3d7, v30
	v_dual_fmac_f32 v30, 0x3f5db3d7, v20 :: v_dual_add_f32 v25, v48, v50
	v_dual_fmamk_f32 v44, v19, 0xbf5db3d7, v13 :: v_dual_mul_f32 v29, 0xbf5db3d7, v24
	v_sub_f32_e32 v20, v21, v23
	v_dual_fmac_f32 v13, 0x3f5db3d7, v19 :: v_dual_fmac_f32 v26, 0.5, v24
	s_delay_alu instid0(VALU_DEP_4) | instskip(SKIP_2) | instid1(VALU_DEP_3)
	v_dual_mul_f32 v50, -0.5, v30 :: v_dual_add_f32 v19, v22, v25
	v_fmac_f32_e32 v27, 0x3f5db3d7, v45
	v_dual_sub_f32 v21, v22, v25 :: v_dual_mul_f32 v48, 0xbf5db3d7, v46
	v_dual_fmac_f32 v29, 0.5, v39 :: v_dual_fmac_f32 v50, 0xbf5db3d7, v53
	v_mul_f32_e32 v39, 0x3f5db3d7, v47
	s_delay_alu instid0(VALU_DEP_3)
	v_dual_mul_f32 v45, -0.5, v53 :: v_dual_fmac_f32 v48, 0.5, v47
	v_add_f32_e32 v22, v49, v26
	v_sub_f32_e32 v26, v49, v26
	v_dual_fmac_f32 v31, 0xbf5db3d7, v66 :: v_dual_sub_f32 v28, v37, v27
	v_dual_add_f32 v24, v37, v27 :: v_dual_add_f32 v23, v51, v29
	v_sub_f32_e32 v27, v51, v29
	v_fmac_f32_e32 v45, 0x3f5db3d7, v30
	s_delay_alu instid0(VALU_DEP_4)
	v_add_f32_e32 v25, v38, v31
	v_dual_sub_f32 v29, v38, v31 :: v_dual_add_f32 v38, v13, v50
	v_fmac_f32_e32 v39, 0.5, v46
	v_add_f32_e32 v31, v44, v48
	v_add_f32_e32 v37, v12, v45
	v_dual_sub_f32 v12, v12, v45 :: v_dual_sub_f32 v13, v13, v50
	s_delay_alu instid0(VALU_DEP_4)
	v_add_f32_e32 v30, v40, v39
	v_sub_f32_e32 v39, v40, v39
	v_sub_f32_e32 v40, v44, v48
	ds_store_2addr_b64 v64, v[14:15], v[22:23] offset1:13
	ds_store_2addr_b64 v64, v[24:25], v[16:17] offset0:26 offset1:39
	ds_store_2addr_b64 v64, v[26:27], v[28:29] offset0:52 offset1:65
	ds_store_2addr_b64 v65, v[18:19], v[30:31] offset1:13
	ds_store_2addr_b64 v65, v[37:38], v[20:21] offset0:26 offset1:39
	ds_store_2addr_b64 v65, v[39:40], v[12:13] offset0:52 offset1:65
	s_and_saveexec_b32 s1, s0
	s_cbranch_execz .LBB0_15
; %bb.14:
	v_add_nc_u16 v12, v36, 0x9c
	s_delay_alu instid0(VALU_DEP_1) | instskip(NEXT) | instid1(VALU_DEP_1)
	v_and_b32_e32 v13, 0xff, v12
	v_mul_lo_u16 v13, 0x4f, v13
	s_delay_alu instid0(VALU_DEP_1) | instskip(NEXT) | instid1(VALU_DEP_1)
	v_lshrrev_b16 v13, 10, v13
	v_mul_lo_u16 v13, v13, 13
	s_delay_alu instid0(VALU_DEP_1) | instskip(NEXT) | instid1(VALU_DEP_1)
	v_sub_nc_u16 v12, v12, v13
	v_and_b32_e32 v22, 0xff, v12
	s_delay_alu instid0(VALU_DEP_1) | instskip(NEXT) | instid1(VALU_DEP_1)
	v_mul_u32_u24_e32 v12, 5, v22
	v_lshlrev_b32_e32 v20, 3, v12
	s_clause 0x2
	global_load_b128 v[12:15], v20, s[4:5]
	global_load_b128 v[16:19], v20, s[4:5] offset:16
	global_load_b64 v[20:21], v20, s[4:5] offset:32
	s_waitcnt vmcnt(2)
	v_mul_f32_e32 v23, v9, v15
	v_mul_f32_e32 v15, v8, v15
	s_waitcnt vmcnt(1)
	v_mul_f32_e32 v24, v5, v19
	v_dual_mul_f32 v19, v4, v19 :: v_dual_lshlrev_b32 v22, 3, v22
	s_delay_alu instid0(VALU_DEP_3)
	v_dual_mul_f32 v26, v11, v17 :: v_dual_fmac_f32 v15, v9, v14
	s_waitcnt vmcnt(0)
	v_mul_f32_e32 v27, v7, v21
	v_fma_f32 v4, v4, v18, -v24
	v_mul_f32_e32 v21, v6, v21
	v_add3_u32 v22, 0, v22, v41
	v_mul_f32_e32 v25, v3, v13
	v_fma_f32 v8, v8, v14, -v23
	v_mul_f32_e32 v17, v10, v17
	v_fmac_f32_e32 v21, v7, v20
	v_fmac_f32_e32 v19, v5, v18
	v_add_nc_u32_e32 v22, 0x1800, v22
	v_fma_f32 v5, v10, v16, -v26
	v_add_f32_e32 v14, v1, v15
	v_fma_f32 v6, v6, v20, -v27
	v_add_f32_e32 v7, v15, v19
	s_delay_alu instid0(VALU_DEP_2) | instskip(NEXT) | instid1(VALU_DEP_2)
	v_add_f32_e32 v9, v5, v6
	v_fma_f32 v18, -0.5, v7, v1
	v_mul_f32_e32 v13, v2, v13
	v_fma_f32 v2, v2, v12, -v25
	s_delay_alu instid0(VALU_DEP_2)
	v_fmac_f32_e32 v13, v3, v12
	v_sub_f32_e32 v3, v8, v4
	v_fmac_f32_e32 v17, v11, v16
	v_sub_f32_e32 v11, v5, v6
	v_add_f32_e32 v5, v2, v5
	v_fma_f32 v7, -0.5, v9, v2
	s_delay_alu instid0(VALU_DEP_2) | instskip(SKIP_4) | instid1(VALU_DEP_2)
	v_dual_add_f32 v5, v5, v6 :: v_dual_fmamk_f32 v6, v3, 0x3f5db3d7, v18
	v_fmac_f32_e32 v18, 0xbf5db3d7, v3
	v_add_f32_e32 v16, v13, v17
	v_add_f32_e32 v12, v17, v21
	v_sub_f32_e32 v10, v17, v21
	v_fma_f32 v2, -0.5, v12, v13
	v_add_f32_e32 v17, v8, v4
	v_add_f32_e32 v8, v0, v8
	v_dual_add_f32 v12, v16, v21 :: v_dual_sub_f32 v15, v15, v19
	v_add_f32_e32 v9, v14, v19
	s_delay_alu instid0(VALU_DEP_4) | instskip(NEXT) | instid1(VALU_DEP_4)
	v_fma_f32 v13, -0.5, v17, v0
	v_add_f32_e32 v4, v8, v4
	v_fmamk_f32 v8, v10, 0xbf5db3d7, v7
	v_fmac_f32_e32 v7, 0x3f5db3d7, v10
	s_delay_alu instid0(VALU_DEP_4) | instskip(SKIP_2) | instid1(VALU_DEP_2)
	v_dual_sub_f32 v1, v9, v12 :: v_dual_fmamk_f32 v16, v15, 0xbf5db3d7, v13
	v_fmamk_f32 v14, v11, 0x3f5db3d7, v2
	v_fmac_f32_e32 v2, 0xbf5db3d7, v11
	v_dual_mul_f32 v10, -0.5, v14 :: v_dual_fmac_f32 v13, 0x3f5db3d7, v15
	v_mul_f32_e32 v15, -0.5, v8
	s_delay_alu instid0(VALU_DEP_2) | instskip(NEXT) | instid1(VALU_DEP_2)
	v_dual_mul_f32 v11, 0xbf5db3d7, v7 :: v_dual_fmac_f32 v10, 0xbf5db3d7, v8
	v_dual_sub_f32 v0, v4, v5 :: v_dual_fmac_f32 v15, 0x3f5db3d7, v14
	v_dual_add_f32 v3, v9, v12 :: v_dual_mul_f32 v12, 0x3f5db3d7, v2
	s_delay_alu instid0(VALU_DEP_3) | instskip(NEXT) | instid1(VALU_DEP_4)
	v_dual_fmac_f32 v11, 0.5, v2 :: v_dual_add_f32 v2, v4, v5
	v_sub_f32_e32 v5, v6, v10
	s_delay_alu instid0(VALU_DEP_3) | instskip(NEXT) | instid1(VALU_DEP_1)
	v_dual_add_f32 v9, v6, v10 :: v_dual_fmac_f32 v12, 0.5, v7
	v_add_f32_e32 v10, v13, v12
	v_sub_f32_e32 v6, v13, v12
	v_add_f32_e32 v8, v16, v15
	v_sub_f32_e32 v7, v18, v11
	;; [unrolled: 2-line block ×3, first 2 shown]
	ds_store_2addr_b64 v22, v[2:3], v[10:11] offset0:168 offset1:181
	ds_store_2addr_b64 v22, v[8:9], v[0:1] offset0:194 offset1:207
	ds_store_2addr_b64 v22, v[6:7], v[4:5] offset0:220 offset1:233
.LBB0_15:
	s_or_b32 exec_lo, exec_lo, s1
	s_waitcnt lgkmcnt(0)
	s_barrier
	buffer_gl0_inv
	s_and_saveexec_b32 s0, vcc_lo
	s_cbranch_execz .LBB0_17
; %bb.16:
	v_mul_u32_u24_e32 v0, 12, v36
	s_delay_alu instid0(VALU_DEP_1)
	v_lshlrev_b32_e32 v0, 3, v0
	s_clause 0x5
	global_load_b128 v[2:5], v0, s[4:5] offset:520
	global_load_b128 v[6:9], v0, s[4:5] offset:600
	;; [unrolled: 1-line block ×6, first 2 shown]
	v_add_nc_u32_e32 v0, 0x1800, v42
	ds_load_2addr_b64 v[20:23], v42 offset0:78 offset1:156
	ds_load_2addr_b64 v[25:28], v0 offset0:90 offset1:168
	v_add_nc_u32_e32 v0, 0x400, v42
	s_waitcnt vmcnt(5) lgkmcnt(1)
	v_dual_mul_f32 v16, v3, v21 :: v_dual_add_nc_u32 v1, 0x1400, v42
	v_mul_f32_e32 v73, v4, v23
	ds_load_2addr_b64 v[56:59], v0 offset0:106 offset1:184
	ds_load_2addr_b64 v[44:47], v1 offset0:62 offset1:140
	v_add_nc_u32_e32 v0, 0x800, v42
	s_waitcnt vmcnt(4) lgkmcnt(2)
	v_dual_mul_f32 v14, v8, v28 :: v_dual_add_nc_u32 v1, 0x1000, v42
	v_dual_mul_f32 v17, v9, v28 :: v_dual_mul_f32 v28, v2, v21
	v_dual_mul_f32 v24, v5, v23 :: v_dual_mul_f32 v15, v6, v26
	v_mul_f32_e32 v31, v7, v26
	s_delay_alu instid0(VALU_DEP_4) | instskip(NEXT) | instid1(VALU_DEP_3)
	v_fmac_f32_e32 v14, v27, v9
	v_fma_f32 v76, v4, v22, -v24
	s_waitcnt vmcnt(3) lgkmcnt(1)
	v_mul_f32_e32 v41, v11, v57
	ds_load_2addr_b64 v[60:63], v0 offset0:134 offset1:212
	ds_load_2addr_b64 v[64:67], v1 offset0:34 offset1:112
	ds_load_b64 v[0:1], v43
	s_waitcnt vmcnt(2) lgkmcnt(3)
	v_mul_f32_e32 v42, v40, v47
	v_dual_mul_f32 v18, v39, v47 :: v_dual_mul_f32 v19, v37, v45
	v_dual_mul_f32 v36, v10, v57 :: v_dual_mul_f32 v43, v13, v59
	v_dual_mul_f32 v57, v38, v45 :: v_dual_mul_f32 v30, v12, v59
	v_fmac_f32_e32 v28, v3, v20
	v_fma_f32 v47, v10, v56, -v41
	s_waitcnt vmcnt(1) lgkmcnt(2)
	v_dual_fmac_f32 v18, v46, v40 :: v_dual_mul_f32 v45, v49, v61
	s_waitcnt vmcnt(0) lgkmcnt(1)
	v_mul_f32_e32 v59, v55, v67
	v_mul_f32_e32 v21, v54, v67
	v_dual_mul_f32 v29, v48, v61 :: v_dual_mul_f32 v26, v50, v63
	v_mul_f32_e32 v61, v51, v63
	v_mul_f32_e32 v67, v53, v65
	v_dual_mul_f32 v23, v52, v65 :: v_dual_fmac_f32 v36, v11, v56
	v_fma_f32 v65, v2, v20, -v16
	v_fma_f32 v16, v8, v27, -v17
	;; [unrolled: 1-line block ×3, first 2 shown]
	v_fmac_f32_e32 v15, v25, v7
	v_dual_fmac_f32 v73, v5, v22 :: v_dual_fmac_f32 v26, v62, v51
	v_fma_f32 v20, v39, v46, -v42
	v_fma_f32 v46, v12, v58, -v43
	;; [unrolled: 1-line block ×3, first 2 shown]
	v_dual_fmac_f32 v19, v44, v38 :: v_dual_sub_f32 v56, v65, v16
	v_dual_fmac_f32 v30, v13, v58 :: v_dual_fmac_f32 v21, v66, v55
	v_fma_f32 v31, v48, v60, -v45
	v_fma_f32 v24, v54, v66, -v59
	;; [unrolled: 1-line block ×4, first 2 shown]
	v_dual_fmac_f32 v23, v64, v53 :: v_dual_sub_f32 v70, v47, v20
	s_delay_alu instid0(VALU_DEP_4)
	v_dual_sub_f32 v80, v28, v14 :: v_dual_add_f32 v7, v31, v24
	v_sub_f32_e32 v58, v76, v17
	v_dual_fmac_f32 v29, v60, v49 :: v_dual_add_f32 v12, v73, v15
	v_dual_sub_f32 v68, v46, v22 :: v_dual_add_f32 v11, v65, v16
	v_dual_sub_f32 v64, v31, v24 :: v_dual_sub_f32 v87, v73, v15
	v_dual_sub_f32 v60, v27, v25 :: v_dual_sub_f32 v69, v30, v19
	v_dual_add_f32 v10, v76, v17 :: v_dual_sub_f32 v63, v26, v23
	s_waitcnt lgkmcnt(0)
	v_add_f32_e32 v59, v65, v0
	v_dual_mul_f32 v98, 0xbe750f2a, v80 :: v_dual_mul_f32 v55, 0xbe750f2a, v58
	v_dual_add_f32 v13, v28, v14 :: v_dual_add_f32 v4, v30, v19
	v_dual_sub_f32 v74, v36, v18 :: v_dual_sub_f32 v67, v29, v21
	v_dual_add_f32 v57, v28, v1 :: v_dual_mul_f32 v96, 0xbe750f2a, v56
	v_dual_mul_f32 v99, 0x3eedf032, v87 :: v_dual_mul_f32 v94, 0x3eedf032, v70
	v_mul_f32_e32 v48, 0x3f7e222b, v63
	v_dual_mul_f32 v51, 0xbf7e222b, v69 :: v_dual_mul_f32 v84, 0xbf7e222b, v56
	v_dual_mul_f32 v42, 0xbe750f2a, v87 :: v_dual_add_f32 v109, v59, v76
	v_fma_f32 v116, 0xbf788fa5, v11, -v98
	v_dual_add_f32 v2, v26, v23 :: v_dual_add_f32 v9, v47, v20
	v_dual_mul_f32 v97, 0x3eedf032, v58 :: v_dual_mul_f32 v72, 0x3eedf032, v67
	v_dual_mul_f32 v89, 0xbf29c268, v70 :: v_dual_mul_f32 v100, 0xbf29c268, v56
	v_dual_mul_f32 v81, 0xbf6f5d39, v64 :: v_dual_add_f32 v108, v57, v73
	v_dual_mul_f32 v78, 0x3f7e222b, v60 :: v_dual_mul_f32 v101, 0x3f7e222b, v58
	v_dual_mul_f32 v83, 0xbf29c268, v74 :: v_dual_mul_f32 v102, 0xbf29c268, v80
	v_mul_f32_e32 v105, 0x3f29c268, v58
	v_dual_mul_f32 v44, 0xbf7e222b, v80 :: v_dual_add_f32 v47, v109, v47
	v_dual_mul_f32 v66, 0xbf52af12, v56 :: v_dual_mul_f32 v61, 0xbf52af12, v58
	v_fma_f32 v117, 0x3f62ad3f, v10, -v99
	v_dual_fmamk_f32 v109, v13, 0x3df6dbef, v84 :: v_dual_add_f32 v116, v116, v0
	v_dual_add_f32 v6, v36, v18 :: v_dual_add_f32 v3, v29, v21
	v_dual_add_f32 v8, v46, v22 :: v_dual_add_f32 v5, v27, v25
	v_dual_mul_f32 v86, 0x3f52af12, v68 :: v_dual_mul_f32 v75, 0x3f52af12, v69
	v_dual_mul_f32 v71, 0xbf6f5d39, v67 :: v_dual_mul_f32 v104, 0xbf6f5d39, v56
	;; [unrolled: 1-line block ×5, first 2 shown]
	v_mul_f32_e32 v79, 0xbf6f5d39, v60
	v_dual_mul_f32 v103, 0x3f7e222b, v87 :: v_dual_mul_f32 v110, 0x3f7e222b, v64
	v_dual_mul_f32 v82, 0xbf52af12, v74 :: v_dual_mul_f32 v37, 0xbf52af12, v67
	v_dual_mul_f32 v49, 0xbf6f5d39, v63 :: v_dual_mul_f32 v106, 0xbf6f5d39, v80
	v_dual_mul_f32 v107, 0x3f29c268, v87 :: v_dual_add_f32 v36, v108, v36
	v_dual_mul_f32 v93, 0xbf7e222b, v68 :: v_dual_mul_f32 v76, 0xbf7e222b, v70
	v_dual_mul_f32 v90, 0x3e750f2a, v64 :: v_dual_mul_f32 v43, 0x3e750f2a, v67
	;; [unrolled: 1-line block ×3, first 2 shown]
	v_mul_f32_e32 v54, 0x3f6f5d39, v70
	v_dual_mul_f32 v50, 0x3eedf032, v68 :: v_dual_mul_f32 v39, 0x3eedf032, v69
	v_dual_mul_f32 v41, 0xbf29c268, v60 :: v_dual_mul_f32 v28, 0xbf29c268, v63
	v_mul_f32_e32 v65, 0xbf6f5d39, v58
	v_mul_f32_e32 v59, 0xbf52af12, v80
	v_dual_mul_f32 v57, 0xbf6f5d39, v87 :: v_dual_add_f32 v30, v36, v30
	v_dual_mul_f32 v62, 0xbeedf032, v56 :: v_dual_add_f32 v109, v109, v1
	v_mul_f32_e32 v56, 0xbf52af12, v87
	v_dual_mul_f32 v87, 0xbe750f2a, v70 :: v_dual_mul_f32 v112, 0xbe750f2a, v60
	v_mul_f32_e32 v73, 0xbe750f2a, v74
	v_dual_mul_f32 v95, 0x3f29c268, v68 :: v_dual_add_f32 v46, v47, v46
	v_dual_mul_f32 v91, 0xbf29c268, v64 :: v_dual_mul_f32 v64, 0xbf29c268, v67
	v_dual_mul_f32 v111, 0x3eedf032, v60 :: v_dual_add_f32 v116, v116, v117
	v_mul_f32_e32 v60, 0xbe750f2a, v63
	v_dual_fmamk_f32 v119, v12, 0x3df6dbef, v101 :: v_dual_fmamk_f32 v126, v2, 0x3df6dbef, v78
	v_fmamk_f32 v113, v12, 0x3f62ad3f, v97
	v_mul_f32_e32 v40, 0x3f6f5d39, v74
	v_fma_f32 v120, 0xbf3f9e67, v11, -v102
	v_fma_f32 v47, 0x3df6dbef, v11, -v44
	v_mul_f32_e32 v70, 0xbf7e222b, v74
	v_mul_f32_e32 v74, 0x3f29c268, v69
	v_dual_fmamk_f32 v118, v13, 0xbf3f9e67, v100 :: v_dual_fmamk_f32 v137, v12, 0xbf3f9e67, v105
	v_fmamk_f32 v117, v13, 0x3f116cb1, v66
	v_mul_f32_e32 v58, 0xbeedf032, v80
	v_mul_f32_e32 v80, 0xbf6f5d39, v68
	;; [unrolled: 1-line block ×3, first 2 shown]
	v_dual_mul_f32 v69, 0x3f7e222b, v67 :: v_dual_add_f32 v118, v118, v1
	v_dual_mul_f32 v67, 0x3eedf032, v63 :: v_dual_add_f32 v120, v120, v0
	v_dual_fmamk_f32 v63, v13, 0xbf788fa5, v96 :: v_dual_fmamk_f32 v36, v12, 0xbf788fa5, v55
	v_fmamk_f32 v136, v13, 0xbeb58ec6, v104
	s_delay_alu instid0(VALU_DEP_4) | instskip(NEXT) | instid1(VALU_DEP_3)
	v_dual_add_f32 v118, v118, v119 :: v_dual_fmamk_f32 v119, v12, 0xbeb58ec6, v65
	v_add_f32_e32 v63, v63, v1
	v_add_f32_e32 v47, v47, v0
	v_fma_f32 v121, 0x3df6dbef, v10, -v103
	v_add_f32_e32 v136, v136, v1
	v_add_f32_e32 v117, v117, v1
	v_add_f32_e32 v63, v63, v113
	v_fma_f32 v113, 0xbf788fa5, v10, -v42
	v_fmamk_f32 v114, v6, 0xbf3f9e67, v89
	s_delay_alu instid0(VALU_DEP_4) | instskip(SKIP_1) | instid1(VALU_DEP_4)
	v_dual_fmamk_f32 v128, v4, 0xbf788fa5, v88 :: v_dual_add_f32 v117, v117, v119
	v_fma_f32 v138, 0xbeb58ec6, v11, -v106
	v_add_f32_e32 v47, v47, v113
	v_fma_f32 v113, 0x3f62ad3f, v11, -v58
	v_fmamk_f32 v134, v2, 0xbeb58ec6, v79
	v_fma_f32 v119, 0x3f116cb1, v10, -v56
	v_dual_fmamk_f32 v115, v4, 0x3f116cb1, v86 :: v_dual_add_f32 v138, v138, v0
	s_delay_alu instid0(VALU_DEP_4)
	v_dual_add_f32 v113, v113, v0 :: v_dual_add_f32 v120, v120, v121
	v_fma_f32 v121, 0x3f116cb1, v11, -v59
	v_fmamk_f32 v122, v3, 0xbeb58ec6, v81
	v_fma_f32 v108, 0xbf3f9e67, v10, -v107
	v_dual_add_f32 v136, v136, v137 :: v_dual_add_f32 v31, v46, v31
	v_fma_f32 v137, 0xbeb58ec6, v10, -v57
	v_add_f32_e32 v121, v121, v0
	s_delay_alu instid0(VALU_DEP_4) | instskip(SKIP_2) | instid1(VALU_DEP_4)
	v_add_f32_e32 v108, v138, v108
	v_fma_f32 v100, 0xbf3f9e67, v13, -v100
	v_dual_fmamk_f32 v138, v13, 0x3f62ad3f, v62 :: v_dual_add_f32 v29, v30, v29
	v_add_f32_e32 v121, v121, v137
	v_fma_f32 v137, 0x3f62ad3f, v9, -v52
	v_fma_f32 v101, 0x3df6dbef, v12, -v101
	v_add_f32_e32 v100, v100, v1
	v_fmac_f32_e32 v102, 0xbf3f9e67, v11
	v_fma_f32 v123, 0xbf3f9e67, v9, -v83
	v_fmac_f32_e32 v83, 0xbf3f9e67, v9
	v_add_f32_e32 v108, v108, v137
	v_fma_f32 v137, 0xbf788fa5, v9, -v73
	v_fmac_f32_e32 v98, 0xbf788fa5, v11
	v_fmamk_f32 v124, v6, 0x3f116cb1, v92
	v_dual_add_f32 v138, v138, v1 :: v_dual_fmac_f32 v99, 0x3f62ad3f, v10
	v_dual_add_f32 v36, v109, v36 :: v_dual_fmamk_f32 v109, v12, 0x3f116cb1, v61
	v_fma_f32 v96, 0xbf788fa5, v13, -v96
	v_dual_add_f32 v100, v100, v101 :: v_dual_fmamk_f32 v101, v6, 0xbeb58ec6, v54
	v_dual_fmac_f32 v103, 0x3df6dbef, v10 :: v_dual_add_f32 v102, v102, v0
	v_dual_add_f32 v121, v121, v137 :: v_dual_add_f32 v98, v98, v0
	v_dual_fmamk_f32 v132, v3, 0x3f62ad3f, v85 :: v_dual_fmamk_f32 v139, v6, 0x3f62ad3f, v94
	v_dual_add_f32 v109, v138, v109 :: v_dual_fmamk_f32 v138, v4, 0x3df6dbef, v93
	v_add_f32_e32 v63, v63, v114
	v_fma_f32 v97, 0x3f62ad3f, v12, -v97
	v_add_f32_e32 v96, v96, v1
	v_fma_f32 v104, 0xbeb58ec6, v13, -v104
	;; [unrolled: 2-line block ×3, first 2 shown]
	v_dual_add_f32 v36, v36, v101 :: v_dual_add_f32 v63, v63, v115
	v_fmamk_f32 v101, v6, 0x3df6dbef, v76
	v_fmac_f32_e32 v106, 0xbeb58ec6, v11
	v_fma_f32 v125, 0x3f116cb1, v9, -v82
	v_dual_add_f32 v113, v113, v119 :: v_dual_fmamk_f32 v30, v3, 0xbf788fa5, v90
	v_dual_add_f32 v96, v96, v97 :: v_dual_fmac_f32 v107, 0xbf3f9e67, v10
	v_fma_f32 v105, 0xbf3f9e67, v12, -v105
	v_dual_add_f32 v136, v136, v139 :: v_dual_fmamk_f32 v139, v6, 0xbf788fa5, v87
	v_dual_add_f32 v104, v104, v1 :: v_dual_add_f32 v47, v47, v103
	v_fma_f32 v103, 0x3df6dbef, v9, -v70
	v_add_f32_e32 v101, v109, v101
	s_delay_alu instid0(VALU_DEP_4)
	v_dual_add_f32 v117, v117, v139 :: v_dual_add_f32 v106, v106, v0
	v_fmamk_f32 v139, v4, 0xbf3f9e67, v95
	v_fma_f32 v127, 0x3f116cb1, v8, -v75
	v_fma_f32 v129, 0xbf788fa5, v8, -v77
	;; [unrolled: 1-line block ×4, first 2 shown]
	v_add_f32_e32 v98, v98, v99
	v_dual_add_f32 v104, v104, v105 :: v_dual_add_f32 v103, v113, v103
	v_dual_fmamk_f32 v105, v4, 0x3f62ad3f, v50 :: v_dual_add_f32 v106, v106, v107
	v_fmac_f32_e32 v75, 0x3f116cb1, v8
	v_fma_f32 v107, 0x3f62ad3f, v8, -v39
	v_dual_add_f32 v116, v116, v123 :: v_dual_fmac_f32 v77, 0xbf788fa5, v8
	v_add_f32_e32 v118, v118, v124
	v_dual_fmamk_f32 v124, v2, 0xbf3f9e67, v41 :: v_dual_add_f32 v27, v31, v27
	v_dual_add_f32 v120, v120, v125 :: v_dual_add_f32 v83, v98, v83
	v_fma_f32 v89, 0xbf3f9e67, v6, -v89
	v_fma_f32 v92, 0x3f116cb1, v6, -v92
	;; [unrolled: 1-line block ×5, first 2 shown]
	v_dual_add_f32 v26, v29, v26 :: v_dual_add_f32 v47, v47, v107
	v_fmac_f32_e32 v49, 0xbeb58ec6, v5
	v_fmac_f32_e32 v82, 0x3f116cb1, v9
	v_fma_f32 v130, 0xbeb58ec6, v7, -v71
	v_fma_f32 v133, 0x3f62ad3f, v7, -v72
	;; [unrolled: 1-line block ×3, first 2 shown]
	v_dual_fmamk_f32 v114, v3, 0x3f116cb1, v45 :: v_dual_add_f32 v89, v96, v89
	v_fmamk_f32 v109, v4, 0xbeb58ec6, v80
	v_fma_f32 v86, 0x3f116cb1, v4, -v86
	v_fma_f32 v88, 0xbf788fa5, v4, -v88
	;; [unrolled: 1-line block ×3, first 2 shown]
	v_fmamk_f32 v29, v3, 0x3df6dbef, v110
	v_fma_f32 v31, 0x3df6dbef, v7, -v69
	v_fmamk_f32 v96, v3, 0xbf3f9e67, v91
	v_fma_f32 v98, 0xbf3f9e67, v7, -v64
	v_fmac_f32_e32 v71, 0xbeb58ec6, v7
	v_dual_fmac_f32 v72, 0x3f62ad3f, v7 :: v_dual_add_f32 v107, v121, v137
	v_dual_add_f32 v92, v100, v92 :: v_dual_add_f32 v101, v101, v109
	v_dual_fmamk_f32 v100, v2, 0x3f62ad3f, v111 :: v_dual_add_f32 v103, v103, v113
	v_dual_add_f32 v94, v104, v94 :: v_dual_add_f32 v23, v26, v23
	v_add_f32_e32 v116, v116, v127
	v_dual_add_f32 v120, v120, v129 :: v_dual_add_f32 v31, v107, v31
	v_add_f32_e32 v127, v136, v138
	v_dual_add_f32 v82, v102, v82 :: v_dual_add_f32 v25, v27, v25
	v_dual_add_f32 v36, v36, v105 :: v_dual_add_f32 v105, v117, v139
	v_add_f32_e32 v108, v108, v119
	v_fma_f32 v131, 0x3df6dbef, v5, -v48
	v_fma_f32 v99, 0x3f116cb1, v5, -v38
	v_dual_fmamk_f32 v104, v2, 0xbf788fa5, v112 :: v_dual_add_f32 v27, v83, v75
	v_dual_fmac_f32 v48, 0x3df6dbef, v5 :: v_dual_add_f32 v75, v92, v88
	v_dual_fmac_f32 v52, 0x3f62ad3f, v9 :: v_dual_add_f32 v63, v63, v122
	s_delay_alu instid0(VALU_DEP_3) | instskip(SKIP_3) | instid1(VALU_DEP_3)
	v_dual_add_f32 v26, v89, v86 :: v_dual_add_f32 v27, v27, v71
	v_add_f32_e32 v77, v82, v77
	v_dual_add_f32 v118, v118, v128 :: v_dual_add_f32 v83, v116, v130
	v_dual_add_f32 v82, v94, v93 :: v_dual_add_f32 v21, v21, v23
	;; [unrolled: 1-line block ×4, first 2 shown]
	s_delay_alu instid0(VALU_DEP_4)
	v_dual_add_f32 v23, v83, v131 :: v_dual_add_f32 v94, v24, v25
	v_fma_f32 v123, 0x3f116cb1, v7, -v37
	v_fma_f32 v85, 0x3f62ad3f, v3, -v85
	;; [unrolled: 1-line block ×3, first 2 shown]
	v_dual_add_f32 v92, v101, v96 :: v_dual_add_f32 v25, v88, v135
	v_add_f32_e32 v93, v103, v98
	v_dual_add_f32 v36, v36, v114 :: v_dual_add_f32 v29, v46, v99
	v_add_f32_e32 v24, v63, v126
	;; [unrolled: 2-line block ×3, first 2 shown]
	v_fmamk_f32 v97, v2, 0x3f116cb1, v53
	v_fma_f32 v125, 0xbf3f9e67, v5, -v28
	v_fma_f32 v81, 0xbeb58ec6, v3, -v81
	v_fma_f32 v90, 0xbf788fa5, v3, -v90
	v_fma_f32 v102, 0x3f62ad3f, v5, -v67
	v_fma_f32 v79, 0xbeb58ec6, v2, -v79
	v_dual_add_f32 v84, v84, v1 :: v_dual_add_f32 v47, v47, v123
	v_dual_add_f32 v86, v118, v132 :: v_dual_add_f32 v75, v75, v85
	;; [unrolled: 1-line block ×3, first 2 shown]
	v_add_f32_e32 v22, v36, v124
	v_dual_add_f32 v36, v18, v46 :: v_dual_fmac_f32 v51, 0x3df6dbef, v8
	v_add_f32_e32 v20, v20, v63
	v_dual_add_f32 v82, v82, v90 :: v_dual_add_f32 v21, v47, v125
	v_add_f32_e32 v26, v86, v134
	v_dual_add_f32 v30, v30, v97 :: v_dual_add_f32 v71, v27, v48
	v_add_f32_e32 v18, v31, v102
	v_add_f32_e32 v31, v15, v36
	v_fma_f32 v27, 0x3f116cb1, v2, -v53
	v_add_f32_e32 v20, v17, v20
	v_fma_f32 v78, 0x3df6dbef, v2, -v78
	v_fma_f32 v36, 0xbeb58ec6, v6, -v54
	v_dual_add_f32 v17, v14, v31 :: v_dual_add_f32 v14, v77, v49
	s_delay_alu instid0(VALU_DEP_4)
	v_dual_add_f32 v49, v82, v27 :: v_dual_add_f32 v16, v16, v20
	v_fmac_f32_e32 v43, 0xbf788fa5, v7
	v_fma_f32 v20, 0xbf788fa5, v12, -v55
	v_add_f32_e32 v31, v106, v52
	v_fma_f32 v115, 0xbf788fa5, v5, -v60
	v_dual_add_f32 v72, v81, v78 :: v_dual_fmac_f32 v37, 0x3f116cb1, v7
	s_delay_alu instid0(VALU_DEP_3) | instskip(SKIP_3) | instid1(VALU_DEP_4)
	v_dual_add_f32 v20, v84, v20 :: v_dual_add_f32 v27, v31, v51
	v_fma_f32 v31, 0x3f62ad3f, v4, -v50
	v_fmac_f32_e32 v59, 0x3f116cb1, v11
	v_fmac_f32_e32 v39, 0x3f62ad3f, v8
	v_add_f32_e32 v20, v20, v36
	v_fma_f32 v36, 0x3f116cb1, v13, -v66
	v_fmac_f32_e32 v44, 0x3df6dbef, v11
	v_dual_add_f32 v27, v27, v43 :: v_dual_fmac_f32 v38, 0x3f116cb1, v5
	s_delay_alu instid0(VALU_DEP_4) | instskip(NEXT) | instid1(VALU_DEP_4)
	v_add_f32_e32 v20, v20, v31
	v_dual_add_f32 v31, v36, v1 :: v_dual_add_f32 v46, v93, v115
	s_delay_alu instid0(VALU_DEP_4)
	v_add_f32_e32 v43, v44, v0
	v_fma_f32 v36, 0xbeb58ec6, v12, -v65
	v_fmac_f32_e32 v42, 0xbf788fa5, v10
	v_fma_f32 v44, 0x3f116cb1, v3, -v45
	v_fma_f32 v13, 0x3f62ad3f, v13, -v62
	;; [unrolled: 1-line block ×3, first 2 shown]
	v_add_f32_e32 v31, v31, v36
	v_add_f32_e32 v42, v43, v42
	v_fma_f32 v36, 0xbf788fa5, v6, -v87
	v_fmac_f32_e32 v40, 0xbeb58ec6, v9
	v_dual_add_f32 v48, v27, v38 :: v_dual_add_f32 v1, v13, v1
	v_fmac_f32_e32 v57, 0xbeb58ec6, v10
	s_delay_alu instid0(VALU_DEP_4) | instskip(NEXT) | instid1(VALU_DEP_4)
	v_add_f32_e32 v31, v31, v36
	v_add_f32_e32 v40, v42, v40
	v_fma_f32 v36, 0xbf3f9e67, v4, -v95
	v_fma_f32 v12, 0x3f116cb1, v12, -v61
	v_fma_f32 v6, 0x3df6dbef, v6, -v76
	v_fmac_f32_e32 v73, 0xbf788fa5, v9
	v_add_f32_e32 v27, v40, v39
	v_add_f32_e32 v20, v20, v44
	v_dual_add_f32 v1, v1, v12 :: v_dual_fmac_f32 v28, 0xbf3f9e67, v5
	v_fma_f32 v4, 0xbeb58ec6, v4, -v80
	s_delay_alu instid0(VALU_DEP_4) | instskip(NEXT) | instid1(VALU_DEP_4)
	v_add_f32_e32 v27, v27, v37
	v_add_f32_e32 v38, v20, v41
	;; [unrolled: 1-line block ×3, first 2 shown]
	v_fma_f32 v31, 0x3df6dbef, v3, -v110
	v_dual_add_f32 v1, v1, v6 :: v_dual_fmac_f32 v58, 0x3f62ad3f, v11
	v_fma_f32 v3, 0xbf3f9e67, v3, -v91
	v_fma_f32 v13, 0x3f62ad3f, v2, -v111
	s_delay_alu instid0(VALU_DEP_4) | instskip(NEXT) | instid1(VALU_DEP_4)
	v_dual_add_f32 v20, v20, v31 :: v_dual_add_f32 v31, v59, v0
	v_add_f32_e32 v1, v1, v4
	v_dual_add_f32 v0, v58, v0 :: v_dual_fmac_f32 v69, 0x3df6dbef, v7
	s_delay_alu instid0(VALU_DEP_3) | instskip(NEXT) | instid1(VALU_DEP_3)
	v_dual_fmac_f32 v56, 0x3f116cb1, v10 :: v_dual_add_f32 v11, v31, v57
	v_dual_add_f32 v3, v1, v3 :: v_dual_fmac_f32 v74, 0xbf3f9e67, v8
	v_add_f32_e32 v1, v20, v13
	s_delay_alu instid0(VALU_DEP_3) | instskip(NEXT) | instid1(VALU_DEP_4)
	v_dual_add_f32 v0, v0, v56 :: v_dual_fmac_f32 v67, 0x3f62ad3f, v5
	v_add_f32_e32 v10, v11, v73
	v_dual_fmac_f32 v70, 0x3df6dbef, v9 :: v_dual_add_f32 v37, v27, v28
	v_fma_f32 v2, 0xbf788fa5, v2, -v112
	v_fmac_f32_e32 v68, 0xbeb58ec6, v8
	s_delay_alu instid0(VALU_DEP_4) | instskip(NEXT) | instid1(VALU_DEP_4)
	v_add_f32_e32 v6, v10, v74
	v_add_f32_e32 v0, v0, v70
	s_delay_alu instid0(VALU_DEP_4) | instskip(SKIP_1) | instid1(VALU_DEP_4)
	v_dual_fmac_f32 v64, 0xbf3f9e67, v7 :: v_dual_add_f32 v3, v3, v2
	v_fmac_f32_e32 v60, 0xbf788fa5, v5
	v_add_f32_e32 v4, v6, v69
	s_delay_alu instid0(VALU_DEP_4) | instskip(SKIP_2) | instid1(VALU_DEP_4)
	v_add_f32_e32 v6, v0, v68
	v_add_f32_e32 v47, v92, v104
	;; [unrolled: 1-line block ×4, first 2 shown]
	s_delay_alu instid0(VALU_DEP_4) | instskip(SKIP_3) | instid1(VALU_DEP_4)
	v_add_f32_e32 v2, v6, v64
	v_lshlrev_b64 v[6:7], 3, v[34:35]
	v_add_co_u32 v4, vcc_lo, s8, v32
	v_add_co_ci_u32_e32 v8, vcc_lo, s9, v33, vcc_lo
	v_add_f32_e32 v2, v2, v60
	s_delay_alu instid0(VALU_DEP_3) | instskip(NEXT) | instid1(VALU_DEP_3)
	v_add_co_u32 v4, vcc_lo, v4, v6
	v_add_co_ci_u32_e32 v5, vcc_lo, v8, v7, vcc_lo
	s_delay_alu instid0(VALU_DEP_2) | instskip(NEXT) | instid1(VALU_DEP_2)
	v_add_co_u32 v6, vcc_lo, 0x1000, v4
	v_add_co_ci_u32_e32 v7, vcc_lo, 0, v5, vcc_lo
	s_clause 0xc
	global_store_b64 v[4:5], v[16:17], off
	global_store_b64 v[4:5], v[46:47], off offset:624
	global_store_b64 v[4:5], v[18:19], off offset:1248
	;; [unrolled: 1-line block ×12, first 2 shown]
.LBB0_17:
	s_nop 0
	s_sendmsg sendmsg(MSG_DEALLOC_VGPRS)
	s_endpgm
	.section	.rodata,"a",@progbits
	.p2align	6, 0x0
	.amdhsa_kernel fft_rtc_fwd_len1014_factors_13_6_13_wgs_156_tpt_78_sp_ip_CI_unitstride_sbrr_dirReg
		.amdhsa_group_segment_fixed_size 0
		.amdhsa_private_segment_fixed_size 0
		.amdhsa_kernarg_size 88
		.amdhsa_user_sgpr_count 15
		.amdhsa_user_sgpr_dispatch_ptr 0
		.amdhsa_user_sgpr_queue_ptr 0
		.amdhsa_user_sgpr_kernarg_segment_ptr 1
		.amdhsa_user_sgpr_dispatch_id 0
		.amdhsa_user_sgpr_private_segment_size 0
		.amdhsa_wavefront_size32 1
		.amdhsa_uses_dynamic_stack 0
		.amdhsa_enable_private_segment 0
		.amdhsa_system_sgpr_workgroup_id_x 1
		.amdhsa_system_sgpr_workgroup_id_y 0
		.amdhsa_system_sgpr_workgroup_id_z 0
		.amdhsa_system_sgpr_workgroup_info 0
		.amdhsa_system_vgpr_workitem_id 0
		.amdhsa_next_free_vgpr 140
		.amdhsa_next_free_sgpr 21
		.amdhsa_reserve_vcc 1
		.amdhsa_float_round_mode_32 0
		.amdhsa_float_round_mode_16_64 0
		.amdhsa_float_denorm_mode_32 3
		.amdhsa_float_denorm_mode_16_64 3
		.amdhsa_dx10_clamp 1
		.amdhsa_ieee_mode 1
		.amdhsa_fp16_overflow 0
		.amdhsa_workgroup_processor_mode 1
		.amdhsa_memory_ordered 1
		.amdhsa_forward_progress 0
		.amdhsa_shared_vgpr_count 0
		.amdhsa_exception_fp_ieee_invalid_op 0
		.amdhsa_exception_fp_denorm_src 0
		.amdhsa_exception_fp_ieee_div_zero 0
		.amdhsa_exception_fp_ieee_overflow 0
		.amdhsa_exception_fp_ieee_underflow 0
		.amdhsa_exception_fp_ieee_inexact 0
		.amdhsa_exception_int_div_zero 0
	.end_amdhsa_kernel
	.text
.Lfunc_end0:
	.size	fft_rtc_fwd_len1014_factors_13_6_13_wgs_156_tpt_78_sp_ip_CI_unitstride_sbrr_dirReg, .Lfunc_end0-fft_rtc_fwd_len1014_factors_13_6_13_wgs_156_tpt_78_sp_ip_CI_unitstride_sbrr_dirReg
                                        ; -- End function
	.section	.AMDGPU.csdata,"",@progbits
; Kernel info:
; codeLenInByte = 9832
; NumSgprs: 23
; NumVgprs: 140
; ScratchSize: 0
; MemoryBound: 0
; FloatMode: 240
; IeeeMode: 1
; LDSByteSize: 0 bytes/workgroup (compile time only)
; SGPRBlocks: 2
; VGPRBlocks: 17
; NumSGPRsForWavesPerEU: 23
; NumVGPRsForWavesPerEU: 140
; Occupancy: 10
; WaveLimiterHint : 1
; COMPUTE_PGM_RSRC2:SCRATCH_EN: 0
; COMPUTE_PGM_RSRC2:USER_SGPR: 15
; COMPUTE_PGM_RSRC2:TRAP_HANDLER: 0
; COMPUTE_PGM_RSRC2:TGID_X_EN: 1
; COMPUTE_PGM_RSRC2:TGID_Y_EN: 0
; COMPUTE_PGM_RSRC2:TGID_Z_EN: 0
; COMPUTE_PGM_RSRC2:TIDIG_COMP_CNT: 0
	.text
	.p2alignl 7, 3214868480
	.fill 96, 4, 3214868480
	.type	__hip_cuid_4f23658dbf4c9d71,@object ; @__hip_cuid_4f23658dbf4c9d71
	.section	.bss,"aw",@nobits
	.globl	__hip_cuid_4f23658dbf4c9d71
__hip_cuid_4f23658dbf4c9d71:
	.byte	0                               ; 0x0
	.size	__hip_cuid_4f23658dbf4c9d71, 1

	.ident	"AMD clang version 19.0.0git (https://github.com/RadeonOpenCompute/llvm-project roc-6.4.0 25133 c7fe45cf4b819c5991fe208aaa96edf142730f1d)"
	.section	".note.GNU-stack","",@progbits
	.addrsig
	.addrsig_sym __hip_cuid_4f23658dbf4c9d71
	.amdgpu_metadata
---
amdhsa.kernels:
  - .args:
      - .actual_access:  read_only
        .address_space:  global
        .offset:         0
        .size:           8
        .value_kind:     global_buffer
      - .offset:         8
        .size:           8
        .value_kind:     by_value
      - .actual_access:  read_only
        .address_space:  global
        .offset:         16
        .size:           8
        .value_kind:     global_buffer
      - .actual_access:  read_only
        .address_space:  global
        .offset:         24
        .size:           8
        .value_kind:     global_buffer
      - .offset:         32
        .size:           8
        .value_kind:     by_value
      - .actual_access:  read_only
        .address_space:  global
        .offset:         40
        .size:           8
        .value_kind:     global_buffer
      - .actual_access:  read_only
        .address_space:  global
        .offset:         48
        .size:           8
        .value_kind:     global_buffer
      - .offset:         56
        .size:           4
        .value_kind:     by_value
      - .actual_access:  read_only
        .address_space:  global
        .offset:         64
        .size:           8
        .value_kind:     global_buffer
      - .actual_access:  read_only
        .address_space:  global
        .offset:         72
        .size:           8
        .value_kind:     global_buffer
      - .address_space:  global
        .offset:         80
        .size:           8
        .value_kind:     global_buffer
    .group_segment_fixed_size: 0
    .kernarg_segment_align: 8
    .kernarg_segment_size: 88
    .language:       OpenCL C
    .language_version:
      - 2
      - 0
    .max_flat_workgroup_size: 156
    .name:           fft_rtc_fwd_len1014_factors_13_6_13_wgs_156_tpt_78_sp_ip_CI_unitstride_sbrr_dirReg
    .private_segment_fixed_size: 0
    .sgpr_count:     23
    .sgpr_spill_count: 0
    .symbol:         fft_rtc_fwd_len1014_factors_13_6_13_wgs_156_tpt_78_sp_ip_CI_unitstride_sbrr_dirReg.kd
    .uniform_work_group_size: 1
    .uses_dynamic_stack: false
    .vgpr_count:     140
    .vgpr_spill_count: 0
    .wavefront_size: 32
    .workgroup_processor_mode: 1
amdhsa.target:   amdgcn-amd-amdhsa--gfx1100
amdhsa.version:
  - 1
  - 2
...

	.end_amdgpu_metadata
